;; amdgpu-corpus repo=ROCm/rocFFT kind=compiled arch=gfx906 opt=O3
	.text
	.amdgcn_target "amdgcn-amd-amdhsa--gfx906"
	.amdhsa_code_object_version 6
	.protected	fft_rtc_back_len289_factors_17_17_wgs_119_tpt_17_dp_op_CI_CI_sbrc_aligned ; -- Begin function fft_rtc_back_len289_factors_17_17_wgs_119_tpt_17_dp_op_CI_CI_sbrc_aligned
	.globl	fft_rtc_back_len289_factors_17_17_wgs_119_tpt_17_dp_op_CI_CI_sbrc_aligned
	.p2align	8
	.type	fft_rtc_back_len289_factors_17_17_wgs_119_tpt_17_dp_op_CI_CI_sbrc_aligned,@function
fft_rtc_back_len289_factors_17_17_wgs_119_tpt_17_dp_op_CI_CI_sbrc_aligned: ; @fft_rtc_back_len289_factors_17_17_wgs_119_tpt_17_dp_op_CI_CI_sbrc_aligned
; %bb.0:
	s_load_dwordx8 s[8:15], s[4:5], 0x0
	s_mov_b32 s30, 0
	s_mov_b64 s[36:37], 2
	s_waitcnt lgkmcnt(0)
	s_load_dword s0, s[12:13], 0x8
	s_load_dwordx4 s[20:23], s[4:5], 0x58
	s_load_dwordx2 s[28:29], s[4:5], 0x20
	s_load_dwordx4 s[24:27], s[14:15], 0x0
	s_mov_b32 s5, s30
	s_waitcnt lgkmcnt(0)
	s_add_i32 s0, s0, -1
	s_mul_hi_u32 s1, s0, 0x24924925
	s_sub_i32 s0, s0, s1
	s_lshr_b32 s0, s0, 1
	s_add_i32 s0, s0, s1
	s_lshr_b32 s0, s0, 2
	s_add_i32 s33, s0, 1
	v_cvt_f32_u32_e32 v1, s33
	s_sub_i32 s2, 0, s33
	s_load_dwordx4 s[16:19], s[28:29], 0x0
	v_cmp_gt_u64_e64 s[0:1], s[10:11], 2
	v_rcp_iflag_f32_e32 v1, v1
	v_mul_f32_e32 v1, 0x4f7ffffe, v1
	v_cvt_u32_f32_e32 v1, v1
	v_readfirstlane_b32 s3, v1
	s_mul_i32 s2, s2, s3
	s_mul_hi_u32 s2, s3, s2
	s_add_i32 s3, s3, s2
	s_mul_hi_u32 s2, s6, s3
	s_mul_i32 s3, s2, s33
	s_sub_i32 s3, s6, s3
	s_add_i32 s4, s2, 1
	s_sub_i32 s7, s3, s33
	s_cmp_ge_u32 s3, s33
	s_cselect_b32 s2, s4, s2
	s_cselect_b32 s3, s7, s3
	s_add_i32 s4, s2, 1
	s_cmp_ge_u32 s3, s33
	s_waitcnt lgkmcnt(0)
	s_cselect_b32 s19, s4, s2
	s_and_b64 vcc, exec, s[0:1]
	s_mul_i32 s0, s19, s33
	s_sub_i32 s7, s6, s0
	s_mul_i32 s7, s7, 7
	s_mul_i32 s0, s17, s7
	s_mul_hi_u32 s1, s16, s7
	s_mul_i32 s4, s7, s26
	s_mul_i32 s2, s16, s7
	s_add_i32 s3, s1, s0
	s_cbranch_vccz .LBB0_9
; %bb.1:
	v_mov_b32_e32 v1, s10
	s_mov_b32 s34, 3
	v_mov_b32_e32 v2, s11
.LBB0_2:                                ; =>This Inner Loop Header: Depth=1
	s_lshl_b64 s[36:37], s[36:37], 3
	s_add_u32 s0, s12, s36
	s_addc_u32 s1, s13, s37
	s_load_dwordx2 s[38:39], s[0:1], 0x0
	s_waitcnt lgkmcnt(0)
	s_mov_b32 s31, s39
	s_cmp_lg_u64 s[30:31], 0
	s_cbranch_scc0 .LBB0_7
; %bb.3:                                ;   in Loop: Header=BB0_2 Depth=1
	v_cvt_f32_u32_e32 v3, s38
	v_cvt_f32_u32_e32 v4, s39
	s_sub_u32 s0, 0, s38
	s_subb_u32 s1, 0, s39
	v_mac_f32_e32 v3, 0x4f800000, v4
	v_rcp_f32_e32 v3, v3
	v_mul_f32_e32 v3, 0x5f7ffffc, v3
	v_mul_f32_e32 v4, 0x2f800000, v3
	v_trunc_f32_e32 v4, v4
	v_mac_f32_e32 v3, 0xcf800000, v4
	v_cvt_u32_f32_e32 v4, v4
	v_cvt_u32_f32_e32 v3, v3
	v_readfirstlane_b32 s27, v4
	v_readfirstlane_b32 s31, v3
	s_mul_i32 s35, s0, s27
	s_mul_hi_u32 s41, s0, s31
	s_mul_i32 s40, s1, s31
	s_add_i32 s35, s41, s35
	s_mul_i32 s42, s0, s31
	s_add_i32 s35, s35, s40
	s_mul_hi_u32 s40, s31, s35
	s_mul_i32 s41, s31, s35
	s_mul_hi_u32 s31, s31, s42
	s_add_u32 s31, s31, s41
	s_addc_u32 s40, 0, s40
	s_mul_hi_u32 s43, s27, s42
	s_mul_i32 s42, s27, s42
	s_add_u32 s31, s31, s42
	s_mul_hi_u32 s41, s27, s35
	s_addc_u32 s31, s40, s43
	s_addc_u32 s40, s41, 0
	s_mul_i32 s35, s27, s35
	s_add_u32 s31, s31, s35
	s_addc_u32 s35, 0, s40
	v_add_co_u32_e32 v3, vcc, s31, v3
	s_cmp_lg_u64 vcc, 0
	s_addc_u32 s27, s27, s35
	v_readfirstlane_b32 s35, v3
	s_mul_i32 s31, s0, s27
	s_mul_hi_u32 s40, s0, s35
	s_add_i32 s31, s40, s31
	s_mul_i32 s1, s1, s35
	s_add_i32 s31, s31, s1
	s_mul_i32 s0, s0, s35
	s_mul_hi_u32 s40, s27, s0
	s_mul_i32 s41, s27, s0
	s_mul_i32 s43, s35, s31
	s_mul_hi_u32 s0, s35, s0
	s_mul_hi_u32 s42, s35, s31
	s_add_u32 s0, s0, s43
	s_addc_u32 s35, 0, s42
	s_add_u32 s0, s0, s41
	s_mul_hi_u32 s1, s27, s31
	s_addc_u32 s0, s35, s40
	s_addc_u32 s1, s1, 0
	s_mul_i32 s31, s27, s31
	s_add_u32 s0, s0, s31
	s_addc_u32 s1, 0, s1
	v_add_co_u32_e32 v3, vcc, s0, v3
	s_cmp_lg_u64 vcc, 0
	s_addc_u32 s0, s27, s1
	v_readfirstlane_b32 s27, v3
	s_mul_hi_u32 s1, s19, s0
	s_mul_i32 s0, s19, s0
	s_mul_hi_u32 s27, s19, s27
	s_add_u32 s0, s27, s0
	s_addc_u32 s27, 0, s1
	s_mul_i32 s0, s39, s27
	s_mul_hi_u32 s1, s38, s27
	s_add_i32 s31, s1, s0
	s_mul_i32 s1, s38, s27
	v_mov_b32_e32 v3, s1
	s_sub_i32 s0, 0, s31
	v_sub_co_u32_e32 v3, vcc, s19, v3
	s_cmp_lg_u64 vcc, 0
	s_subb_u32 s35, s0, s39
	v_subrev_co_u32_e64 v4, s[0:1], s38, v3
	s_cmp_lg_u64 s[0:1], 0
	s_subb_u32 s0, s35, 0
	s_cmp_ge_u32 s0, s39
	v_readfirstlane_b32 s35, v4
	s_cselect_b32 s1, -1, 0
	s_cmp_ge_u32 s35, s38
	s_cselect_b32 s35, -1, 0
	s_cmp_eq_u32 s0, s39
	s_cselect_b32 s0, s35, s1
	s_add_u32 s1, s27, 1
	s_addc_u32 s35, 0, 0
	s_add_u32 s40, s27, 2
	s_addc_u32 s41, 0, 0
	s_cmp_lg_u32 s0, 0
	s_cselect_b32 s0, s40, s1
	s_cselect_b32 s1, s41, s35
	s_cmp_lg_u64 vcc, 0
	s_subb_u32 s31, 0, s31
	s_cmp_ge_u32 s31, s39
	v_readfirstlane_b32 s40, v3
	s_cselect_b32 s35, -1, 0
	s_cmp_ge_u32 s40, s38
	s_cselect_b32 s40, -1, 0
	s_cmp_eq_u32 s31, s39
	s_cselect_b32 s31, s40, s35
	s_cmp_lg_u32 s31, 0
	s_cselect_b32 s1, s1, 0
	s_cselect_b32 s0, s0, s27
	s_cbranch_execnz .LBB0_5
.LBB0_4:                                ;   in Loop: Header=BB0_2 Depth=1
	v_cvt_f32_u32_e32 v3, s38
	s_sub_i32 s0, 0, s38
	v_rcp_iflag_f32_e32 v3, v3
	v_mul_f32_e32 v3, 0x4f7ffffe, v3
	v_cvt_u32_f32_e32 v3, v3
	v_readfirstlane_b32 s1, v3
	s_mul_i32 s0, s0, s1
	s_mul_hi_u32 s0, s1, s0
	s_add_i32 s1, s1, s0
	s_mul_hi_u32 s0, s19, s1
	s_mul_i32 s27, s0, s38
	s_sub_i32 s27, s19, s27
	s_add_i32 s1, s0, 1
	s_sub_i32 s31, s27, s38
	s_cmp_ge_u32 s27, s38
	s_cselect_b32 s0, s1, s0
	s_cselect_b32 s27, s31, s27
	s_add_i32 s1, s0, 1
	s_cmp_ge_u32 s27, s38
	s_cselect_b32 s0, s1, s0
	s_mov_b32 s1, s30
.LBB0_5:                                ;   in Loop: Header=BB0_2 Depth=1
	s_mul_i32 s27, s0, s39
	s_mul_hi_u32 s31, s0, s38
	s_add_i32 s27, s31, s27
	s_mul_i32 s1, s1, s38
	s_add_i32 s27, s27, s1
	s_mul_i32 s1, s0, s38
	s_sub_u32 s1, s19, s1
	s_subb_u32 s19, 0, s27
	s_add_u32 s40, s14, s36
	s_addc_u32 s41, s15, s37
	s_load_dwordx2 s[40:41], s[40:41], 0x0
	s_mov_b32 s35, s30
	v_cmp_ge_u64_e32 vcc, s[34:35], v[1:2]
	s_mul_i32 s33, s33, s38
	s_waitcnt lgkmcnt(0)
	s_mul_i32 s27, s40, s19
	s_mul_hi_u32 s31, s40, s1
	s_add_i32 s27, s31, s27
	s_mul_i32 s31, s41, s1
	s_add_i32 s27, s27, s31
	s_mul_i32 s31, s40, s1
	s_add_u32 s4, s31, s4
	s_addc_u32 s5, s27, s5
	s_add_u32 s36, s28, s36
	s_addc_u32 s37, s29, s37
	s_load_dwordx2 s[36:37], s[36:37], 0x0
	s_waitcnt lgkmcnt(0)
	s_mul_i32 s19, s36, s19
	s_mul_hi_u32 s27, s36, s1
	s_add_i32 s19, s27, s19
	s_mul_i32 s27, s37, s1
	s_add_i32 s19, s19, s27
	s_mul_i32 s1, s36, s1
	s_add_u32 s2, s1, s2
	s_addc_u32 s3, s19, s3
	s_mov_b64 s[36:37], s[34:35]
	s_add_i32 s34, s34, 1
	s_cbranch_vccnz .LBB0_8
; %bb.6:                                ;   in Loop: Header=BB0_2 Depth=1
	s_mov_b32 s19, s0
	s_branch .LBB0_2
.LBB0_7:                                ;   in Loop: Header=BB0_2 Depth=1
                                        ; implicit-def: $sgpr0_sgpr1
	s_branch .LBB0_4
.LBB0_8:
	v_cvt_f32_u32_e32 v1, s33
	s_sub_i32 s0, 0, s33
	v_rcp_iflag_f32_e32 v1, v1
	v_mul_f32_e32 v1, 0x4f7ffffe, v1
	v_cvt_u32_f32_e32 v1, v1
	v_readfirstlane_b32 s1, v1
	s_mul_i32 s0, s0, s1
	s_mul_hi_u32 s0, s1, s0
	s_add_i32 s1, s1, s0
	s_mul_hi_u32 s0, s6, s1
	s_mul_i32 s1, s0, s33
	s_sub_i32 s1, s6, s1
	s_add_i32 s12, s0, 1
	s_sub_i32 s6, s1, s33
	s_cmp_ge_u32 s1, s33
	s_cselect_b32 s0, s12, s0
	s_cselect_b32 s1, s6, s1
	s_add_i32 s6, s0, 1
	s_cmp_ge_u32 s1, s33
	s_cselect_b32 s19, s6, s0
.LBB0_9:
	s_lshl_b64 s[0:1], s[10:11], 3
	s_add_u32 s10, s14, s0
	s_addc_u32 s11, s15, s1
	s_load_dwordx2 s[10:11], s[10:11], 0x0
	v_mad_u64_u32 v[1:2], s[12:13], s24, v0, 0
	v_add_u32_e32 v6, 0x77, v0
	v_mov_b32_e32 v37, 0
	s_waitcnt lgkmcnt(0)
	s_mul_i32 s6, s11, s19
	s_mul_hi_u32 s11, s10, s19
	s_add_i32 s11, s11, s6
	s_add_u32 s0, s28, s0
	s_addc_u32 s1, s29, s1
	s_load_dwordx2 s[0:1], s[0:1], 0x0
	s_mul_i32 s10, s10, s19
	s_lshl_b64 s[10:11], s[10:11], 4
	v_mad_u64_u32 v[2:3], s[12:13], s25, v0, v[2:3]
	s_waitcnt lgkmcnt(0)
	s_mul_i32 s1, s1, s19
	s_mul_hi_u32 s6, s0, s19
	s_add_i32 s1, s6, s1
	s_add_u32 s6, s20, s10
	s_addc_u32 s10, s21, s11
	s_lshl_b64 s[4:5], s[4:5], 4
	s_add_u32 s4, s6, s4
	s_addc_u32 s5, s10, s5
	v_mad_u64_u32 v[3:4], s[10:11], s24, v6, 0
	v_lshlrev_b64 v[1:2], 4, v[1:2]
	v_mov_b32_e32 v5, s5
	v_add_co_u32_e32 v9, vcc, s4, v1
	v_mov_b32_e32 v1, v4
	v_addc_co_u32_e32 v10, vcc, v5, v2, vcc
	v_mad_u64_u32 v[1:2], s[10:11], s25, v6, v[1:2]
	v_add_u32_e32 v2, 0xee, v0
	v_mul_u32_u24_e32 v4, 0xe3, v2
	v_lshrrev_b32_e32 v15, 16, v4
	v_mul_lo_u16_e32 v4, 0x121, v15
	v_sub_u16_e32 v5, v2, v4
	v_mad_u64_u32 v[11:12], s[10:11], s24, v5, 0
	v_mov_b32_e32 v4, v1
	v_lshlrev_b64 v[1:2], 4, v[3:4]
	v_mov_b32_e32 v4, s5
	v_mov_b32_e32 v3, v12
	v_mad_u64_u32 v[12:13], s[10:11], s25, v5, v[3:4]
	v_add_co_u32_e32 v13, vcc, s4, v1
	v_addc_co_u32_e32 v14, vcc, v4, v2, vcc
	global_load_dwordx4 v[1:4], v[9:10], off
	global_load_dwordx4 v[5:8], v[13:14], off
	v_lshlrev_b64 v[9:10], 4, v[11:12]
	v_add_u32_e32 v11, 0x165, v0
	v_mul_u32_u24_e32 v12, 0xe3, v11
	v_lshrrev_b32_e32 v14, 16, v12
	v_mul_lo_u16_e32 v12, 0x121, v14
	v_mul_lo_u32 v36, s26, v15
	v_sub_u16_e32 v15, v11, v12
	v_mad_u64_u32 v[11:12], s[10:11], s24, v15, 0
	v_mov_b32_e32 v13, s5
	v_add_co_u32_e32 v16, vcc, s4, v9
	v_addc_co_u32_e32 v18, vcc, v13, v10, vcc
	v_mad_u64_u32 v[12:13], s[10:11], s25, v15, v[12:13]
	v_lshlrev_b64 v[9:10], 4, v[36:37]
	v_mul_lo_u32 v36, s26, v14
	v_add_co_u32_e32 v17, vcc, v16, v9
	v_addc_co_u32_e32 v18, vcc, v18, v10, vcc
	v_lshlrev_b64 v[9:10], 4, v[11:12]
	v_add_u32_e32 v12, 0x1dc, v0
	v_mul_u32_u24_e32 v13, 0xe3, v12
	v_lshrrev_b32_e32 v23, 16, v13
	v_mul_lo_u16_e32 v13, 0x121, v23
	v_sub_u16_e32 v12, v12, v13
	v_mad_u64_u32 v[19:20], s[10:11], s24, v12, 0
	v_mov_b32_e32 v11, s5
	v_add_co_u32_e32 v13, vcc, s4, v9
	v_addc_co_u32_e32 v14, vcc, v11, v10, vcc
	v_mov_b32_e32 v11, v20
	v_mad_u64_u32 v[20:21], s[10:11], s25, v12, v[11:12]
	v_lshlrev_b64 v[9:10], 4, v[36:37]
	v_mul_lo_u32 v36, s26, v23
	v_add_co_u32_e32 v21, vcc, v13, v9
	v_addc_co_u32_e32 v22, vcc, v14, v10, vcc
	global_load_dwordx4 v[9:12], v[17:18], off
	global_load_dwordx4 v[13:16], v[21:22], off
	v_lshlrev_b64 v[17:18], 4, v[19:20]
	v_add_u32_e32 v19, 0x253, v0
	v_mul_u32_u24_e32 v20, 0xe3, v19
	v_lshrrev_b32_e32 v22, 16, v20
	v_mul_lo_u16_e32 v20, 0x121, v22
	v_sub_u16_e32 v23, v19, v20
	v_mad_u64_u32 v[19:20], s[10:11], s24, v23, 0
	v_mov_b32_e32 v21, s5
	v_add_co_u32_e32 v24, vcc, s4, v17
	v_addc_co_u32_e32 v26, vcc, v21, v18, vcc
	v_mad_u64_u32 v[20:21], s[10:11], s25, v23, v[20:21]
	v_lshlrev_b64 v[17:18], 4, v[36:37]
	v_mul_lo_u32 v36, s26, v22
	v_add_co_u32_e32 v25, vcc, v24, v17
	v_addc_co_u32_e32 v26, vcc, v26, v18, vcc
	v_lshlrev_b64 v[17:18], 4, v[19:20]
	v_add_u32_e32 v20, 0x2ca, v0
	v_mul_u32_u24_e32 v21, 0xe3, v20
	v_lshrrev_b32_e32 v31, 16, v21
	v_mul_lo_u16_e32 v21, 0x121, v31
	v_sub_u16_e32 v20, v20, v21
	v_mad_u64_u32 v[27:28], s[10:11], s24, v20, 0
	v_mov_b32_e32 v19, s5
	v_add_co_u32_e32 v21, vcc, s4, v17
	v_addc_co_u32_e32 v22, vcc, v19, v18, vcc
	v_mov_b32_e32 v19, v28
	v_mad_u64_u32 v[28:29], s[10:11], s25, v20, v[19:20]
	v_lshlrev_b64 v[17:18], 4, v[36:37]
	v_mul_lo_u32 v36, s26, v31
	v_add_co_u32_e32 v29, vcc, v21, v17
	v_addc_co_u32_e32 v30, vcc, v22, v18, vcc
	global_load_dwordx4 v[17:20], v[25:26], off
	global_load_dwordx4 v[21:24], v[29:30], off
	v_lshlrev_b64 v[25:26], 4, v[27:28]
	v_add_u32_e32 v27, 0x341, v0
	v_mul_u32_u24_e32 v28, 0xe3, v27
	v_lshrrev_b32_e32 v30, 16, v28
	v_mul_lo_u16_e32 v28, 0x121, v30
	v_sub_u16_e32 v31, v27, v28
	v_mad_u64_u32 v[27:28], s[10:11], s24, v31, 0
	v_mov_b32_e32 v29, s5
	v_add_co_u32_e32 v32, vcc, s4, v25
	v_addc_co_u32_e32 v34, vcc, v29, v26, vcc
	v_mad_u64_u32 v[28:29], s[10:11], s25, v31, v[28:29]
	v_lshlrev_b64 v[25:26], 4, v[36:37]
	v_mul_lo_u32 v36, s26, v30
	v_add_co_u32_e32 v33, vcc, v32, v25
	v_addc_co_u32_e32 v34, vcc, v34, v26, vcc
	v_lshlrev_b64 v[25:26], 4, v[27:28]
	v_add_u32_e32 v28, 0x3b8, v0
	v_mul_u32_u24_e32 v29, 0x717, v28
	v_lshrrev_b32_e32 v41, 19, v29
	v_mul_lo_u16_e32 v29, 0x121, v41
	v_sub_u16_e32 v28, v28, v29
	v_mad_u64_u32 v[38:39], s[10:11], s24, v28, 0
	v_mov_b32_e32 v27, s5
	v_add_co_u32_e32 v29, vcc, s4, v25
	v_addc_co_u32_e32 v30, vcc, v27, v26, vcc
	v_mov_b32_e32 v27, v39
	v_lshlrev_b64 v[25:26], 4, v[36:37]
	v_mad_u64_u32 v[35:36], s[10:11], s25, v28, v[27:28]
	v_add_co_u32_e32 v39, vcc, v29, v25
	v_addc_co_u32_e32 v40, vcc, v30, v26, vcc
	global_load_dwordx4 v[25:28], v[33:34], off
	global_load_dwordx4 v[29:32], v[39:40], off
	v_mov_b32_e32 v39, v35
	v_lshlrev_b64 v[33:34], 4, v[38:39]
	v_add_u32_e32 v38, 0x42f, v0
	v_mul_u32_u24_e32 v39, 0x717, v38
	v_lshrrev_b32_e32 v40, 19, v39
	v_mul_lo_u16_e32 v39, 0x121, v40
	v_mul_lo_u32 v36, s26, v41
	v_sub_u16_e32 v41, v38, v39
	v_mad_u64_u32 v[38:39], s[10:11], s24, v41, 0
	v_mov_b32_e32 v35, s5
	v_add_co_u32_e32 v42, vcc, s4, v33
	v_addc_co_u32_e32 v43, vcc, v35, v34, vcc
	v_mov_b32_e32 v35, v39
	v_lshlrev_b64 v[33:34], 4, v[36:37]
	v_mad_u64_u32 v[35:36], s[10:11], s25, v41, v[35:36]
	v_mul_lo_u32 v36, s26, v40
	v_add_u32_e32 v40, 0x4a6, v0
	v_mul_u32_u24_e32 v41, 0x717, v40
	v_add_co_u32_e32 v33, vcc, v42, v33
	v_lshrrev_b32_e32 v42, 19, v41
	v_mul_lo_u16_e32 v41, 0x121, v42
	v_addc_co_u32_e32 v34, vcc, v43, v34, vcc
	v_sub_u16_e32 v43, v40, v41
	v_mad_u64_u32 v[40:41], s[10:11], s24, v43, 0
	v_mov_b32_e32 v39, v35
	v_lshlrev_b64 v[38:39], 4, v[38:39]
	v_mov_b32_e32 v35, s5
	v_add_co_u32_e32 v44, vcc, s4, v38
	v_mov_b32_e32 v38, v41
	v_addc_co_u32_e32 v45, vcc, v35, v39, vcc
	v_mad_u64_u32 v[38:39], s[10:11], s25, v43, v[38:39]
	v_lshlrev_b64 v[35:36], 4, v[36:37]
	s_mov_b32 s48, 0x5d8e7cdc
	v_mov_b32_e32 v41, v38
	v_lshlrev_b64 v[38:39], 4, v[40:41]
	v_add_u32_e32 v40, 0x51d, v0
	v_mul_u32_u24_e32 v41, 0x717, v40
	v_add_co_u32_e32 v46, vcc, v44, v35
	v_lshrrev_b32_e32 v51, 19, v41
	v_addc_co_u32_e32 v47, vcc, v45, v36, vcc
	v_mul_lo_u32 v36, s26, v42
	v_mul_lo_u16_e32 v41, 0x121, v51
	v_sub_u16_e32 v40, v40, v41
	v_mad_u64_u32 v[48:49], s[10:11], s24, v40, 0
	v_mov_b32_e32 v35, s5
	v_add_co_u32_e32 v41, vcc, s4, v38
	v_addc_co_u32_e32 v39, vcc, v35, v39, vcc
	v_lshlrev_b64 v[35:36], 4, v[36:37]
	v_mov_b32_e32 v38, v49
	v_add_co_u32_e32 v54, vcc, v41, v35
	v_mad_u64_u32 v[49:50], s[10:11], s25, v40, v[38:39]
	v_addc_co_u32_e32 v55, vcc, v39, v36, vcc
	global_load_dwordx4 v[38:41], v[33:34], off
	global_load_dwordx4 v[42:45], v[46:47], off
	v_add_u32_e32 v46, 0x594, v0
	v_mul_u32_u24_e32 v47, 0x717, v46
	v_lshrrev_b32_e32 v58, 19, v47
	v_mul_lo_u16_e32 v47, 0x121, v58
	v_sub_u16_e32 v46, v46, v47
	v_mad_u64_u32 v[56:57], s[10:11], s24, v46, 0
	v_mul_lo_u32 v36, s26, v51
	v_lshlrev_b64 v[33:34], 4, v[48:49]
	v_mov_b32_e32 v35, s5
	v_add_co_u32_e32 v47, vcc, s4, v33
	v_addc_co_u32_e32 v48, vcc, v35, v34, vcc
	v_mov_b32_e32 v35, v57
	v_lshlrev_b64 v[33:34], 4, v[36:37]
	v_mad_u64_u32 v[35:36], s[10:11], s25, v46, v[35:36]
	v_add_co_u32_e32 v33, vcc, v47, v33
	v_addc_co_u32_e32 v34, vcc, v48, v34, vcc
	global_load_dwordx4 v[46:49], v[54:55], off
	global_load_dwordx4 v[50:53], v[33:34], off
	v_add_u32_e32 v54, 0x60b, v0
	v_mov_b32_e32 v57, v35
	v_mul_u32_u24_e32 v55, 0x717, v54
	v_lshlrev_b64 v[33:34], 4, v[56:57]
	v_lshrrev_b32_e32 v56, 19, v55
	v_mul_lo_u16_e32 v55, 0x121, v56
	v_sub_u16_e32 v57, v54, v55
	v_mad_u64_u32 v[54:55], s[10:11], s24, v57, 0
	v_mul_lo_u32 v36, s26, v58
	v_mov_b32_e32 v35, s5
	v_add_co_u32_e32 v58, vcc, s4, v33
	v_addc_co_u32_e32 v59, vcc, v35, v34, vcc
	v_mov_b32_e32 v35, v55
	v_lshlrev_b64 v[33:34], 4, v[36:37]
	v_mad_u64_u32 v[35:36], s[10:11], s25, v57, v[35:36]
	v_mul_lo_u32 v36, s26, v56
	v_add_u32_e32 v56, 0x682, v0
	v_mul_u32_u24_e32 v57, 0x717, v56
	v_lshrrev_b32_e32 v65, 19, v57
	v_mul_lo_u16_e32 v57, 0x121, v65
	v_sub_u16_e32 v56, v56, v57
	v_mov_b32_e32 v55, v35
	v_mad_u64_u32 v[62:63], s[10:11], s24, v56, 0
	v_add_co_u32_e32 v33, vcc, v58, v33
	v_lshlrev_b64 v[54:55], 4, v[54:55]
	v_addc_co_u32_e32 v34, vcc, v59, v34, vcc
	v_mov_b32_e32 v35, s5
	v_add_co_u32_e32 v57, vcc, s4, v54
	v_addc_co_u32_e32 v55, vcc, v35, v55, vcc
	v_mov_b32_e32 v54, v63
	v_mad_u64_u32 v[63:64], s[10:11], s25, v56, v[54:55]
	v_lshlrev_b64 v[35:36], 4, v[36:37]
	s_mov_b32 s12, 0x7c9e640b
	v_add_co_u32_e32 v35, vcc, v57, v35
	v_addc_co_u32_e32 v36, vcc, v55, v36, vcc
	global_load_dwordx4 v[54:57], v[33:34], off
	global_load_dwordx4 v[58:61], v[35:36], off
	v_lshlrev_b64 v[33:34], 4, v[62:63]
	v_add_u32_e32 v62, 0x6f9, v0
	v_mul_u32_u24_e32 v63, 0x717, v62
	v_lshrrev_b32_e32 v64, 19, v63
	v_mul_lo_u16_e32 v63, 0x121, v64
	v_mul_lo_u32 v36, s26, v65
	v_sub_u16_e32 v65, v62, v63
	v_mad_u64_u32 v[62:63], s[10:11], s24, v65, 0
	v_mov_b32_e32 v35, s5
	v_add_co_u32_e32 v66, vcc, s4, v33
	v_addc_co_u32_e32 v67, vcc, v35, v34, vcc
	v_mov_b32_e32 v35, v63
	v_lshlrev_b64 v[33:34], 4, v[36:37]
	v_mad_u64_u32 v[35:36], s[10:11], s25, v65, v[35:36]
	v_add_co_u32_e32 v70, vcc, v66, v33
	v_mov_b32_e32 v63, v35
	v_addc_co_u32_e32 v71, vcc, v67, v34, vcc
	v_lshlrev_b64 v[33:34], 4, v[62:63]
	v_add_u32_e32 v62, 0x770, v0
	v_mul_u32_u24_e32 v63, 0x717, v62
	v_mul_lo_u32 v36, s26, v64
	v_lshrrev_b32_e32 v64, 19, v63
	v_mul_lo_u16_e32 v63, 0x121, v64
	v_sub_u16_e32 v65, v62, v63
	v_mad_u64_u32 v[62:63], s[10:11], s24, v65, 0
	v_mov_b32_e32 v35, s5
	v_add_co_u32_e32 v66, vcc, s4, v33
	v_addc_co_u32_e32 v67, vcc, v35, v34, vcc
	v_mov_b32_e32 v35, v63
	v_lshlrev_b64 v[33:34], 4, v[36:37]
	v_mad_u64_u32 v[35:36], s[10:11], s25, v65, v[35:36]
	v_add_co_u32_e32 v72, vcc, v66, v33
	v_mov_b32_e32 v63, v35
	v_mul_lo_u32 v36, s26, v64
	v_addc_co_u32_e32 v73, vcc, v67, v34, vcc
	v_lshlrev_b64 v[33:34], 4, v[62:63]
	v_mov_b32_e32 v35, s5
	v_add_co_u32_e32 v62, vcc, s4, v33
	v_addc_co_u32_e32 v35, vcc, v35, v34, vcc
	v_lshlrev_b64 v[33:34], 4, v[36:37]
	s_mov_b32 s4, 0x24924925
	v_add_co_u32_e32 v74, vcc, v62, v33
	v_addc_co_u32_e32 v75, vcc, v35, v34, vcc
	global_load_dwordx4 v[33:36], v[70:71], off
	global_load_dwordx4 v[62:65], v[72:73], off
	global_load_dwordx4 v[66:69], v[74:75], off
	v_lshl_add_u32 v70, v0, 4, 0
	s_waitcnt vmcnt(16)
	ds_write_b128 v70, v[1:4]
	s_waitcnt vmcnt(15)
	ds_write_b128 v70, v[5:8] offset:1904
	s_waitcnt vmcnt(14)
	ds_write_b128 v70, v[9:12] offset:3808
	s_waitcnt vmcnt(13)
	ds_write_b128 v70, v[13:16] offset:5712
	s_waitcnt vmcnt(12)
	ds_write_b128 v70, v[17:20] offset:7616
	s_waitcnt vmcnt(11)
	ds_write_b128 v70, v[21:24] offset:9520
	v_mul_u32_u24_e32 v1, 0xf10, v0
	v_add_u32_sdwa v2, s7, v1 dst_sel:DWORD dst_unused:UNUSED_PAD src0_sel:DWORD src1_sel:WORD_1
	v_mul_hi_u32 v3, v2, s4
	s_waitcnt vmcnt(10)
	ds_write_b128 v70, v[25:28] offset:11424
	s_waitcnt vmcnt(9)
	ds_write_b128 v70, v[29:32] offset:13328
	;; [unrolled: 2-line block ×11, first 2 shown]
	v_sub_u32_e32 v4, v2, v3
	v_lshrrev_b32_e32 v4, 1, v4
	v_add_u32_e32 v3, v4, v3
	v_lshrrev_b32_e32 v3, 2, v3
	v_mul_lo_u32 v3, v3, 7
	s_waitcnt lgkmcnt(0)
	s_barrier
	v_sub_u32_e32 v2, v2, v3
	v_mov_b32_e32 v3, 17
	v_mul_u32_u24_e32 v2, 0x121, v2
	v_mul_lo_u16_sdwa v1, v1, v3 dst_sel:DWORD dst_unused:UNUSED_PAD src0_sel:WORD_1 src1_sel:DWORD
	v_sub_u16_e32 v123, v0, v1
	v_lshlrev_b32_e32 v1, 4, v2
	v_add_u32_e32 v124, 0, v1
	v_lshlrev_b32_e32 v2, 4, v123
	v_add_u32_e32 v122, v124, v2
	v_add3_u32 v134, 0, v2, v1
	ds_read_b128 v[5:8], v122
	ds_read_b128 v[38:41], v134 offset:272
	ds_read_b128 v[44:47], v134 offset:544
	;; [unrolled: 1-line block ×9, first 2 shown]
	s_waitcnt lgkmcnt(8)
	v_add_f64 v[3:4], v[7:8], v[40:41]
	v_add_f64 v[1:2], v[5:6], v[38:39]
	ds_read_b128 v[21:24], v134 offset:2720
	ds_read_b128 v[29:32], v134 offset:2992
	;; [unrolled: 1-line block ×7, first 2 shown]
	s_mov_b32 s24, 0x2a9d6da3
	s_mov_b32 s28, 0x6c9a05f6
	s_waitcnt lgkmcnt(14)
	v_add_f64 v[3:4], v[3:4], v[46:47]
	v_add_f64 v[1:2], v[1:2], v[44:45]
	s_waitcnt lgkmcnt(0)
	v_add_f64 v[96:97], v[40:41], -v[78:79]
	s_mov_b32 s49, 0xbfd71e95
	s_mov_b32 s25, 0xbfe58eea
	;; [unrolled: 1-line block ×4, first 2 shown]
	v_add_f64 v[94:95], v[38:39], v[76:77]
	v_add_f64 v[3:4], v[3:4], v[54:55]
	;; [unrolled: 1-line block ×4, first 2 shown]
	v_add_f64 v[33:34], v[38:39], -v[76:77]
	v_add_f64 v[40:41], v[44:45], v[48:49]
	v_add_f64 v[42:43], v[46:47], v[50:51]
	v_add_f64 v[38:39], v[44:45], -v[48:49]
	v_add_f64 v[46:47], v[46:47], -v[50:51]
	v_add_f64 v[3:4], v[3:4], v[62:63]
	v_add_f64 v[1:2], v[1:2], v[60:61]
	v_add_f64 v[44:45], v[52:53], -v[56:57]
	;; [unrolled: 4-line block ×3, first 2 shown]
	v_add_f64 v[92:93], v[11:12], -v[15:16]
	v_add_f64 v[3:4], v[3:4], v[70:71]
	v_add_f64 v[1:2], v[1:2], v[68:69]
	s_mov_b32 s34, 0x370991
	s_mov_b32 s26, 0x75d4884
	;; [unrolled: 1-line block ×6, first 2 shown]
	v_add_f64 v[3:4], v[3:4], v[27:28]
	v_add_f64 v[1:2], v[1:2], v[25:26]
	s_mov_b32 s38, 0x4363dd80
	s_mov_b32 s56, 0xacd6c6b4
	;; [unrolled: 1-line block ×6, first 2 shown]
	v_add_f64 v[3:4], v[3:4], v[19:20]
	v_add_f64 v[1:2], v[1:2], v[17:18]
	s_mov_b32 s11, 0xbfeec746
	s_mov_b32 s31, 0xbfe348c8
	;; [unrolled: 1-line block ×4, first 2 shown]
	v_add_f64 v[82:83], v[19:20], v[23:24]
	v_add_f64 v[84:85], v[19:20], -v[23:24]
	v_add_f64 v[3:4], v[3:4], v[11:12]
	v_add_f64 v[1:2], v[1:2], v[9:10]
	v_mul_f64 v[9:10], v[96:97], s[24:25]
	v_mul_f64 v[19:20], v[96:97], s[4:5]
	s_mov_b32 s6, 0x3259b75e
	s_mov_b32 s20, 0xc61f0d01
	;; [unrolled: 1-line block ×4, first 2 shown]
	v_add_f64 v[3:4], v[3:4], v[15:16]
	v_add_f64 v[1:2], v[1:2], v[13:14]
	v_mul_f64 v[15:16], v[96:97], s[12:13]
	s_mov_b32 s7, 0x3fb79ee6
	s_mov_b32 s21, 0xbfd183b1
	;; [unrolled: 1-line block ×5, first 2 shown]
	v_add_f64 v[3:4], v[3:4], v[23:24]
	v_add_f64 v[1:2], v[1:2], v[21:22]
	v_mul_f64 v[23:24], v[96:97], s[10:11]
	s_mov_b32 s50, s48
	v_mul_f64 v[106:107], v[35:36], s[14:15]
	v_mul_f64 v[110:111], v[35:36], s[6:7]
	;; [unrolled: 1-line block ×4, first 2 shown]
	v_add_f64 v[3:4], v[3:4], v[31:32]
	v_add_f64 v[1:2], v[1:2], v[29:30]
	v_mul_f64 v[127:128], v[35:36], s[42:43]
	s_mov_b32 s47, 0x3fe58eea
	s_mov_b32 s46, s24
	;; [unrolled: 1-line block ×5, first 2 shown]
	v_add_f64 v[3:4], v[3:4], v[74:75]
	v_add_f64 v[1:2], v[1:2], v[72:73]
	s_mov_b32 s36, s4
	s_mov_b32 s45, 0x3feec746
	s_mov_b32 s44, s10
	s_mov_b32 s53, 0x3fe9895b
	s_mov_b32 s52, s28
	s_mov_b32 s55, 0x3fe0d888
	v_add_f64 v[3:4], v[3:4], v[66:67]
	v_add_f64 v[1:2], v[1:2], v[64:65]
	s_mov_b32 s54, s38
	s_mov_b32 s61, 0x3fc7851a
	;; [unrolled: 1-line block ×3, first 2 shown]
	v_fma_f64 v[112:113], v[33:34], s[40:41], v[106:107]
	v_fma_f64 v[106:107], v[33:34], s[12:13], v[106:107]
	;; [unrolled: 1-line block ×3, first 2 shown]
	v_add_f64 v[3:4], v[3:4], v[58:59]
	v_add_f64 v[1:2], v[1:2], v[56:57]
	v_fma_f64 v[110:111], v[33:34], s[4:5], v[110:111]
	v_fma_f64 v[120:121], v[33:34], s[44:45], v[114:115]
	;; [unrolled: 1-line block ×6, first 2 shown]
	v_add_f64 v[3:4], v[3:4], v[50:51]
	v_add_f64 v[1:2], v[1:2], v[48:49]
	;; [unrolled: 1-line block ×4, first 2 shown]
	v_add_f64 v[56:57], v[54:55], -v[58:59]
	v_add_f64 v[54:55], v[60:61], v[64:65]
	v_add_f64 v[58:59], v[62:63], v[66:67]
	v_add_f64 v[52:53], v[60:61], -v[64:65]
	v_add_f64 v[3:4], v[3:4], v[78:79]
	v_add_f64 v[60:61], v[62:63], -v[66:67]
	v_add_f64 v[62:63], v[68:69], v[72:73]
	v_add_f64 v[66:67], v[70:71], v[74:75]
	v_add_f64 v[64:65], v[68:69], -v[72:73]
	v_add_f64 v[68:69], v[70:71], -v[74:75]
	v_add_f64 v[70:71], v[25:26], v[29:30]
	v_add_f64 v[72:73], v[25:26], -v[29:30]
	v_add_f64 v[78:79], v[17:18], v[21:22]
	v_mul_f64 v[17:18], v[96:97], s[48:49]
	v_mul_f64 v[29:30], v[96:97], s[28:29]
	v_add_f64 v[1:2], v[1:2], v[76:77]
	v_add_f64 v[74:75], v[27:28], v[31:32]
	v_add_f64 v[76:77], v[27:28], -v[31:32]
	v_fma_f64 v[21:22], v[94:95], s[14:15], v[15:16]
	v_fma_f64 v[15:16], v[94:95], s[14:15], -v[15:16]
	v_mul_f64 v[31:32], v[96:97], s[38:39]
	v_fma_f64 v[11:12], v[94:95], s[34:35], v[17:18]
	v_fma_f64 v[13:14], v[94:95], s[34:35], -v[17:18]
	v_fma_f64 v[17:18], v[94:95], s[26:27], v[9:10]
	v_fma_f64 v[9:10], v[94:95], s[26:27], -v[9:10]
	v_mul_f64 v[96:97], v[96:97], s[56:57]
	v_fma_f64 v[98:99], v[94:95], s[30:31], v[29:30]
	v_fma_f64 v[100:101], v[94:95], s[30:31], -v[29:30]
	v_mul_f64 v[29:30], v[35:36], s[34:35]
	v_fma_f64 v[25:26], v[94:95], s[6:7], v[19:20]
	v_fma_f64 v[19:20], v[94:95], s[6:7], -v[19:20]
	v_fma_f64 v[27:28], v[94:95], s[20:21], v[23:24]
	v_fma_f64 v[23:24], v[94:95], s[20:21], -v[23:24]
	;; [unrolled: 2-line block ×4, first 2 shown]
	v_mul_f64 v[31:32], v[35:36], s[26:27]
	v_fma_f64 v[96:97], v[33:34], s[50:51], v[29:30]
	v_fma_f64 v[29:30], v[33:34], s[48:49], v[29:30]
	v_mul_f64 v[35:36], v[35:36], s[58:59]
	v_add_f64 v[143:144], v[5:6], v[9:10]
	v_add_f64 v[149:150], v[5:6], v[15:16]
	v_mul_f64 v[9:10], v[46:47], s[24:25]
	v_mul_f64 v[15:16], v[42:43], s[26:27]
	v_fma_f64 v[108:109], v[33:34], s[46:47], v[31:32]
	v_fma_f64 v[31:32], v[33:34], s[24:25], v[31:32]
	;; [unrolled: 1-line block ×5, first 2 shown]
	v_add_f64 v[11:12], v[5:6], v[11:12]
	v_add_f64 v[35:36], v[7:8], v[96:97]
	;; [unrolled: 1-line block ×7, first 2 shown]
	v_fma_f64 v[19:20], v[40:41], s[26:27], v[9:10]
	v_fma_f64 v[23:24], v[38:39], s[46:47], v[15:16]
	v_mul_f64 v[25:26], v[56:57], s[12:13]
	v_mul_f64 v[27:28], v[50:51], s[14:15]
	v_add_f64 v[151:152], v[7:8], v[106:107]
	v_add_f64 v[159:160], v[7:8], v[110:111]
	;; [unrolled: 1-line block ×9, first 2 shown]
	v_fma_f64 v[23:24], v[48:49], s[14:15], v[25:26]
	v_fma_f64 v[35:36], v[44:45], s[40:41], v[27:28]
	v_mul_f64 v[125:126], v[60:61], s[4:5]
	v_mul_f64 v[127:128], v[58:59], s[6:7]
	v_add_f64 v[13:14], v[5:6], v[13:14]
	v_add_f64 v[17:18], v[5:6], v[17:18]
	;; [unrolled: 1-line block ×16, first 2 shown]
	v_fma_f64 v[5:6], v[40:41], s[26:27], -v[9:10]
	v_fma_f64 v[7:8], v[38:39], s[24:25], v[15:16]
	v_add_f64 v[9:10], v[23:24], v[11:12]
	v_add_f64 v[11:12], v[35:36], v[19:20]
	v_fma_f64 v[15:16], v[54:55], s[6:7], v[125:126]
	v_fma_f64 v[19:20], v[52:53], s[36:37], v[127:128]
	v_mul_f64 v[23:24], v[68:69], s[10:11]
	v_mul_f64 v[33:34], v[66:67], s[20:21]
	v_add_f64 v[5:6], v[5:6], v[13:14]
	v_add_f64 v[7:8], v[7:8], v[139:140]
	v_fma_f64 v[13:14], v[48:49], s[14:15], -v[25:26]
	v_fma_f64 v[25:26], v[44:45], s[12:13], v[27:28]
	v_add_f64 v[9:10], v[15:16], v[9:10]
	v_add_f64 v[11:12], v[19:20], v[11:12]
	v_fma_f64 v[15:16], v[62:63], s[20:21], v[23:24]
	v_fma_f64 v[19:20], v[64:65], s[44:45], v[33:34]
	v_mul_f64 v[27:28], v[76:77], s[28:29]
	v_mul_f64 v[35:36], v[74:75], s[30:31]
	v_add_f64 v[5:6], v[13:14], v[5:6]
	v_add_f64 v[7:8], v[25:26], v[7:8]
	;; [unrolled: 10-line block ×36, first 2 shown]
	v_fma_f64 v[125:126], v[48:49], s[34:35], -v[135:136]
	v_fma_f64 v[127:128], v[44:45], s[48:49], v[137:138]
	v_add_f64 v[129:130], v[139:140], v[129:130]
	v_add_f64 v[131:132], v[141:142], v[131:132]
	v_fma_f64 v[135:136], v[62:63], s[6:7], v[143:144]
	v_fma_f64 v[137:138], v[64:65], s[4:5], v[145:146]
	v_mul_f64 v[139:140], v[76:77], s[24:25]
	v_mul_f64 v[141:142], v[74:75], s[26:27]
	;; [unrolled: 1-line block ×4, first 2 shown]
	v_add_f64 v[110:111], v[125:126], v[110:111]
	v_add_f64 v[112:113], v[127:128], v[112:113]
	;; [unrolled: 1-line block ×4, first 2 shown]
	v_fma_f64 v[135:136], v[70:71], s[26:27], v[139:140]
	v_fma_f64 v[137:138], v[72:73], s[46:47], v[141:142]
	v_fma_f64 v[125:126], v[54:55], s[42:43], -v[151:152]
	v_fma_f64 v[127:128], v[52:53], s[38:39], v[153:154]
	v_mul_f64 v[155:156], v[56:57], s[4:5]
	v_mul_f64 v[157:158], v[50:51], s[6:7]
	;; [unrolled: 1-line block ×4, first 2 shown]
	v_add_f64 v[129:130], v[135:136], v[129:130]
	v_add_f64 v[131:132], v[137:138], v[131:132]
	v_fma_f64 v[135:136], v[78:79], s[58:59], v[147:148]
	v_fma_f64 v[137:138], v[80:81], s[60:61], v[149:150]
	v_add_f64 v[110:111], v[125:126], v[110:111]
	v_add_f64 v[112:113], v[127:128], v[112:113]
	v_fma_f64 v[125:126], v[62:63], s[6:7], -v[143:144]
	v_fma_f64 v[127:128], v[64:65], s[36:37], v[145:146]
	v_mul_f64 v[143:144], v[92:93], s[40:41]
	v_mul_f64 v[145:146], v[90:91], s[14:15]
	v_add_f64 v[129:130], v[135:136], v[129:130]
	v_add_f64 v[131:132], v[137:138], v[131:132]
	v_mul_f64 v[135:136], v[46:47], s[40:41]
	v_mul_f64 v[137:138], v[42:43], s[14:15]
	v_add_f64 v[110:111], v[125:126], v[110:111]
	v_add_f64 v[112:113], v[127:128], v[112:113]
	v_fma_f64 v[125:126], v[70:71], s[26:27], -v[139:140]
	v_fma_f64 v[127:128], v[72:73], s[24:25], v[141:142]
	v_fma_f64 v[139:140], v[86:87], s[14:15], v[143:144]
	;; [unrolled: 1-line block ×5, first 2 shown]
	v_fma_f64 v[147:148], v[78:79], s[58:59], -v[147:148]
	v_fma_f64 v[149:150], v[80:81], s[56:57], v[149:150]
	v_add_f64 v[125:126], v[125:126], v[110:111]
	v_add_f64 v[127:128], v[127:128], v[112:113]
	;; [unrolled: 1-line block ×6, first 2 shown]
	v_fma_f64 v[129:130], v[48:49], s[6:7], v[155:156]
	v_fma_f64 v[131:132], v[44:45], s[36:37], v[157:158]
	v_mul_f64 v[139:140], v[60:61], s[52:53]
	v_mul_f64 v[141:142], v[58:59], s[30:31]
	v_fma_f64 v[135:136], v[40:41], s[14:15], -v[135:136]
	v_fma_f64 v[137:138], v[38:39], s[40:41], v[137:138]
	v_add_f64 v[125:126], v[147:148], v[125:126]
	v_add_f64 v[127:128], v[149:150], v[127:128]
	;; [unrolled: 1-line block ×4, first 2 shown]
	v_fma_f64 v[129:130], v[54:55], s[30:31], v[139:140]
	v_fma_f64 v[131:132], v[52:53], s[28:29], v[141:142]
	v_mul_f64 v[147:148], v[68:69], s[48:49]
	v_mul_f64 v[149:150], v[66:67], s[34:35]
	v_add_f64 v[102:103], v[135:136], v[102:103]
	v_add_f64 v[104:105], v[137:138], v[104:105]
	v_fma_f64 v[135:136], v[48:49], s[6:7], -v[155:156]
	v_fma_f64 v[137:138], v[44:45], s[4:5], v[157:158]
	v_add_f64 v[106:107], v[129:130], v[106:107]
	v_add_f64 v[108:109], v[131:132], v[108:109]
	v_fma_f64 v[129:130], v[62:63], s[34:35], v[147:148]
	v_fma_f64 v[131:132], v[64:65], s[50:51], v[149:150]
	v_mul_f64 v[151:152], v[76:77], s[56:57]
	v_mul_f64 v[153:154], v[74:75], s[58:59]
	v_add_f64 v[102:103], v[135:136], v[102:103]
	v_add_f64 v[104:105], v[137:138], v[104:105]
	v_fma_f64 v[135:136], v[54:55], s[30:31], -v[139:140]
	v_fma_f64 v[137:138], v[52:53], s[52:53], v[141:142]
	v_fma_f64 v[143:144], v[86:87], s[14:15], -v[143:144]
	v_fma_f64 v[145:146], v[88:89], s[40:41], v[145:146]
	v_add_f64 v[106:107], v[129:130], v[106:107]
	v_add_f64 v[108:109], v[131:132], v[108:109]
	v_fma_f64 v[129:130], v[70:71], s[58:59], v[151:152]
	v_fma_f64 v[131:132], v[72:73], s[60:61], v[153:154]
	v_mul_f64 v[141:142], v[82:83], s[26:27]
	v_add_f64 v[135:136], v[135:136], v[102:103]
	v_add_f64 v[104:105], v[137:138], v[104:105]
	v_fma_f64 v[137:138], v[62:63], s[34:35], -v[147:148]
	v_fma_f64 v[147:148], v[64:65], s[48:49], v[149:150]
	v_mul_f64 v[46:47], v[46:47], s[50:51]
	v_mul_f64 v[42:43], v[42:43], s[34:35]
	v_add_f64 v[102:103], v[143:144], v[125:126]
	v_add_f64 v[106:107], v[129:130], v[106:107]
	;; [unrolled: 1-line block ×3, first 2 shown]
	v_fma_f64 v[129:130], v[80:81], s[24:25], v[141:142]
	v_add_f64 v[131:132], v[137:138], v[135:136]
	v_add_f64 v[135:136], v[147:148], v[104:105]
	v_fma_f64 v[143:144], v[40:41], s[34:35], v[46:47]
	v_add_f64 v[104:105], v[145:146], v[127:128]
	v_fma_f64 v[127:128], v[38:39], s[48:49], v[42:43]
	v_fma_f64 v[40:41], v[40:41], s[34:35], -v[46:47]
	v_fma_f64 v[38:39], v[38:39], s[50:51], v[42:43]
	v_add_f64 v[108:109], v[129:130], v[108:109]
	v_fma_f64 v[129:130], v[48:49], s[42:43], v[56:57]
	v_mul_f64 v[46:47], v[60:61], s[46:47]
	v_add_f64 v[100:101], v[143:144], v[100:101]
	v_fma_f64 v[42:43], v[44:45], s[54:55], v[50:51]
	v_add_f64 v[96:97], v[127:128], v[96:97]
	v_add_f64 v[40:41], v[40:41], v[98:99]
	v_fma_f64 v[48:49], v[48:49], s[42:43], -v[56:57]
	v_mul_f64 v[56:57], v[58:59], s[26:27]
	v_add_f64 v[38:39], v[38:39], v[94:95]
	v_fma_f64 v[44:45], v[44:45], s[38:39], v[50:51]
	v_add_f64 v[100:101], v[129:130], v[100:101]
	v_fma_f64 v[98:99], v[54:55], s[26:27], v[46:47]
	v_add_f64 v[42:43], v[42:43], v[96:97]
	v_mul_f64 v[68:69], v[68:69], s[28:29]
	v_add_f64 v[40:41], v[48:49], v[40:41]
	v_fma_f64 v[48:49], v[52:53], s[24:25], v[56:57]
	v_fma_f64 v[46:47], v[54:55], s[26:27], -v[46:47]
	v_mul_f64 v[54:55], v[66:67], s[30:31]
	v_add_f64 v[38:39], v[44:45], v[38:39]
	v_fma_f64 v[52:53], v[52:53], s[46:47], v[56:57]
	v_mul_f64 v[139:140], v[84:85], s[46:47]
	v_add_f64 v[50:51], v[98:99], v[100:101]
	v_mul_f64 v[66:67], v[76:77], s[40:41]
	v_add_f64 v[42:43], v[48:49], v[42:43]
	v_fma_f64 v[48:49], v[62:63], s[30:31], v[68:69]
	v_add_f64 v[40:41], v[46:47], v[40:41]
	v_fma_f64 v[46:47], v[64:65], s[52:53], v[54:55]
	v_mul_f64 v[74:75], v[74:75], s[14:15]
	v_add_f64 v[38:39], v[52:53], v[38:39]
	v_fma_f64 v[62:63], v[62:63], s[30:31], -v[68:69]
	v_fma_f64 v[54:55], v[64:65], s[28:29], v[54:55]
	v_fma_f64 v[125:126], v[78:79], s[26:27], v[139:140]
	v_fma_f64 v[137:138], v[70:71], s[58:59], -v[151:152]
	v_fma_f64 v[147:148], v[72:73], s[56:57], v[153:154]
	v_add_f64 v[48:49], v[48:49], v[50:51]
	v_add_f64 v[42:43], v[46:47], v[42:43]
	v_fma_f64 v[46:47], v[70:71], s[14:15], v[66:67]
	v_fma_f64 v[50:51], v[72:73], s[12:13], v[74:75]
	v_mul_f64 v[64:65], v[84:85], s[10:11]
	v_mul_f64 v[76:77], v[82:83], s[20:21]
	v_add_f64 v[40:41], v[62:63], v[40:41]
	v_add_f64 v[38:39], v[54:55], v[38:39]
	v_fma_f64 v[54:55], v[70:71], s[14:15], -v[66:67]
	v_fma_f64 v[62:63], v[72:73], s[40:41], v[74:75]
	v_add_f64 v[106:107], v[125:126], v[106:107]
	v_add_f64 v[125:126], v[137:138], v[131:132]
	;; [unrolled: 1-line block ×3, first 2 shown]
	v_fma_f64 v[60:61], v[78:79], s[26:27], -v[139:140]
	v_fma_f64 v[135:136], v[80:81], s[46:47], v[141:142]
	v_mul_f64 v[44:45], v[92:93], s[10:11]
	v_mul_f64 v[56:57], v[90:91], s[20:21]
	v_add_f64 v[46:47], v[46:47], v[48:49]
	v_add_f64 v[42:43], v[50:51], v[42:43]
	v_fma_f64 v[48:49], v[78:79], s[20:21], v[64:65]
	v_fma_f64 v[50:51], v[80:81], s[44:45], v[76:77]
	v_mul_f64 v[66:67], v[92:93], s[36:37]
	v_add_f64 v[40:41], v[54:55], v[40:41]
	v_fma_f64 v[54:55], v[78:79], s[20:21], -v[64:65]
	v_mul_f64 v[70:71], v[90:91], s[6:7]
	v_add_f64 v[38:39], v[62:63], v[38:39]
	v_fma_f64 v[62:63], v[80:81], s[10:11], v[76:77]
	v_add_f64 v[58:59], v[60:61], v[125:126]
	v_add_f64 v[60:61], v[135:136], v[131:132]
	v_fma_f64 v[52:53], v[86:87], s[20:21], v[44:45]
	v_fma_f64 v[68:69], v[88:89], s[44:45], v[56:57]
	v_fma_f64 v[44:45], v[86:87], s[20:21], -v[44:45]
	v_fma_f64 v[56:57], v[88:89], s[10:11], v[56:57]
	v_add_f64 v[46:47], v[48:49], v[46:47]
	v_add_f64 v[48:49], v[50:51], v[42:43]
	v_fma_f64 v[50:51], v[86:87], s[6:7], v[66:67]
	v_add_f64 v[54:55], v[54:55], v[40:41]
	v_fma_f64 v[66:67], v[86:87], s[6:7], -v[66:67]
	v_fma_f64 v[64:65], v[88:89], s[4:5], v[70:71]
	v_add_f64 v[62:63], v[62:63], v[38:39]
	v_fma_f64 v[70:71], v[88:89], s[36:37], v[70:71]
	s_movk_i32 s33, 0x110
	v_add_f64 v[38:39], v[52:53], v[106:107]
	v_add_f64 v[40:41], v[68:69], v[108:109]
	;; [unrolled: 1-line block ×6, first 2 shown]
	v_mad_u32_u24 v54, v123, s33, v124
	v_lshlrev_b32_e32 v82, 8, v123
	v_add_f64 v[48:49], v[64:65], v[48:49]
	v_add_f64 v[52:53], v[70:71], v[62:63]
	s_barrier
	ds_write_b128 v54, v[1:4]
	ds_write_b128 v54, v[9:12] offset:16
	ds_write_b128 v54, v[17:20] offset:32
	;; [unrolled: 1-line block ×16, first 2 shown]
	s_waitcnt lgkmcnt(0)
	s_barrier
	global_load_dwordx4 v[1:4], v82, s[8:9]
	global_load_dwordx4 v[9:12], v82, s[8:9] offset:16
	global_load_dwordx4 v[13:16], v82, s[8:9] offset:32
	;; [unrolled: 1-line block ×9, first 2 shown]
	ds_read_b128 v[46:49], v134 offset:272
	ds_read_b128 v[50:53], v134 offset:544
	global_load_dwordx4 v[54:57], v82, s[8:9] offset:160
	global_load_dwordx4 v[66:69], v82, s[8:9] offset:176
	ds_read_b128 v[5:8], v122
	ds_read_b128 v[58:61], v134 offset:816
	s_mul_i32 s0, s0, s19
	s_lshl_b64 s[0:1], s[0:1], 4
	s_waitcnt vmcnt(11) lgkmcnt(3)
	v_mul_f64 v[62:63], v[48:49], v[3:4]
	v_mul_f64 v[3:4], v[46:47], v[3:4]
	s_waitcnt vmcnt(10) lgkmcnt(2)
	v_mul_f64 v[64:65], v[52:53], v[11:12]
	v_mul_f64 v[11:12], v[50:51], v[11:12]
	v_fma_f64 v[62:63], v[46:47], v[1:2], v[62:63]
	v_fma_f64 v[70:71], v[48:49], v[1:2], -v[3:4]
	ds_read_b128 v[46:49], v134 offset:1088
	v_fma_f64 v[72:73], v[50:51], v[9:10], v[64:65]
	global_load_dwordx4 v[1:4], v82, s[8:9] offset:192
	s_waitcnt vmcnt(10) lgkmcnt(1)
	v_mul_f64 v[64:65], v[60:61], v[15:16]
	v_mul_f64 v[15:16], v[58:59], v[15:16]
	v_fma_f64 v[74:75], v[52:53], v[9:10], -v[11:12]
	global_load_dwordx4 v[50:53], v82, s[8:9] offset:208
	ds_read_b128 v[9:12], v134 offset:1360
	s_waitcnt vmcnt(10) lgkmcnt(1)
	v_mul_f64 v[76:77], v[48:49], v[19:20]
	v_add_f64 v[78:79], v[5:6], v[62:63]
	v_add_f64 v[80:81], v[7:8], v[70:71]
	v_mul_f64 v[19:20], v[46:47], v[19:20]
	v_fma_f64 v[92:93], v[58:59], v[13:14], v[64:65]
	v_fma_f64 v[96:97], v[60:61], v[13:14], -v[15:16]
	v_fma_f64 v[120:121], v[46:47], v[17:18], v[76:77]
	v_add_f64 v[64:65], v[78:79], v[72:73]
	v_add_f64 v[76:77], v[80:81], v[74:75]
	v_fma_f64 v[78:79], v[48:49], v[17:18], -v[19:20]
	s_waitcnt vmcnt(9) lgkmcnt(0)
	v_mul_f64 v[80:81], v[11:12], v[23:24]
	v_mul_f64 v[23:24], v[9:10], v[23:24]
	global_load_dwordx4 v[46:49], v82, s[8:9] offset:240
	global_load_dwordx4 v[58:61], v82, s[8:9] offset:224
	ds_read_b128 v[13:16], v134 offset:1632
	ds_read_b128 v[17:20], v134 offset:1904
	v_add_f64 v[82:83], v[64:65], v[92:93]
	v_add_f64 v[76:77], v[76:77], v[96:97]
	s_waitcnt vmcnt(10) lgkmcnt(1)
	v_mul_f64 v[84:85], v[15:16], v[27:28]
	v_mul_f64 v[27:28], v[13:14], v[27:28]
	v_fma_f64 v[86:87], v[9:10], v[21:22], v[80:81]
	v_fma_f64 v[64:65], v[11:12], v[21:22], -v[23:24]
	ds_read_b128 v[9:12], v134 offset:2176
	v_add_f64 v[21:22], v[82:83], v[120:121]
	v_add_f64 v[23:24], v[76:77], v[78:79]
	s_waitcnt vmcnt(9) lgkmcnt(1)
	v_mul_f64 v[76:77], v[19:20], v[31:32]
	v_fma_f64 v[90:91], v[13:14], v[25:26], v[84:85]
	v_fma_f64 v[94:95], v[15:16], v[25:26], -v[27:28]
	v_mul_f64 v[15:16], v[17:18], v[31:32]
	v_add_f64 v[25:26], v[21:22], v[86:87]
	v_add_f64 v[27:28], v[23:24], v[64:65]
	ds_read_b128 v[21:24], v134 offset:2448
	s_waitcnt vmcnt(8) lgkmcnt(1)
	v_mul_f64 v[31:32], v[11:12], v[35:36]
	v_mul_f64 v[35:36], v[9:10], v[35:36]
	v_fma_f64 v[13:14], v[17:18], v[29:30], v[76:77]
	v_fma_f64 v[17:18], v[19:20], v[29:30], -v[15:16]
	s_waitcnt vmcnt(7) lgkmcnt(0)
	v_mul_f64 v[76:77], v[23:24], v[40:41]
	v_add_f64 v[15:16], v[25:26], v[90:91]
	v_add_f64 v[19:20], v[27:28], v[94:95]
	ds_read_b128 v[25:28], v134 offset:2720
	v_fma_f64 v[9:10], v[9:10], v[33:34], v[31:32]
	ds_read_b128 v[29:32], v134 offset:2992
	v_fma_f64 v[11:12], v[11:12], v[33:34], -v[35:36]
	v_mul_f64 v[33:34], v[21:22], v[40:41]
	s_waitcnt vmcnt(6) lgkmcnt(1)
	v_mul_f64 v[80:81], v[27:28], v[44:45]
	v_add_f64 v[35:36], v[15:16], v[13:14]
	v_add_f64 v[40:41], v[19:20], v[17:18]
	v_mul_f64 v[44:45], v[25:26], v[44:45]
	v_fma_f64 v[15:16], v[21:22], v[38:39], v[76:77]
	v_fma_f64 v[19:20], v[23:24], v[38:39], -v[33:34]
	s_waitcnt vmcnt(5) lgkmcnt(0)
	v_mul_f64 v[38:39], v[31:32], v[56:57]
	v_add_f64 v[33:34], v[35:36], v[9:10]
	v_add_f64 v[35:36], v[40:41], v[11:12]
	v_fma_f64 v[108:109], v[25:26], v[42:43], v[80:81]
	v_fma_f64 v[104:105], v[27:28], v[42:43], -v[44:45]
	v_mul_f64 v[40:41], v[29:30], v[56:57]
	ds_read_b128 v[21:24], v134 offset:3264
	ds_read_b128 v[25:28], v134 offset:3536
	v_fma_f64 v[106:107], v[29:30], v[54:55], v[38:39]
	v_add_f64 v[33:34], v[33:34], v[15:16]
	v_add_f64 v[35:36], v[35:36], v[19:20]
	s_waitcnt vmcnt(4) lgkmcnt(1)
	v_mul_f64 v[42:43], v[23:24], v[68:69]
	v_mul_f64 v[38:39], v[21:22], v[68:69]
	v_fma_f64 v[98:99], v[31:32], v[54:55], -v[40:41]
	ds_read_b128 v[29:32], v134 offset:3808
	v_add_f64 v[33:34], v[33:34], v[108:109]
	v_add_f64 v[35:36], v[35:36], v[104:105]
	s_waitcnt vmcnt(3) lgkmcnt(1)
	v_mul_f64 v[40:41], v[27:28], v[3:4]
	v_fma_f64 v[88:89], v[21:22], v[66:67], v[42:43]
	v_mul_f64 v[3:4], v[25:26], v[3:4]
	v_fma_f64 v[68:69], v[23:24], v[66:67], -v[38:39]
	ds_read_b128 v[21:24], v134 offset:4080
	s_waitcnt vmcnt(2) lgkmcnt(1)
	v_mul_f64 v[38:39], v[31:32], v[52:53]
	v_add_f64 v[33:34], v[33:34], v[106:107]
	v_add_f64 v[35:36], v[35:36], v[98:99]
	v_mul_f64 v[42:43], v[29:30], v[52:53]
	v_fma_f64 v[54:55], v[25:26], v[1:2], v[40:41]
	v_fma_f64 v[56:57], v[27:28], v[1:2], -v[3:4]
	ds_read_b128 v[1:4], v134 offset:4352
	s_waitcnt lgkmcnt(0)
	v_fma_f64 v[66:67], v[29:30], v[50:51], v[38:39]
	v_add_f64 v[25:26], v[33:34], v[88:89]
	v_add_f64 v[27:28], v[35:36], v[68:69]
	v_fma_f64 v[50:51], v[31:32], v[50:51], -v[42:43]
	s_waitcnt vmcnt(0)
	s_barrier
	v_mul_f64 v[29:30], v[1:2], v[48:49]
	v_mul_f64 v[31:32], v[23:24], v[60:61]
	;; [unrolled: 1-line block ×4, first 2 shown]
	v_add_f64 v[25:26], v[25:26], v[54:55]
	v_add_f64 v[27:28], v[27:28], v[56:57]
	v_fma_f64 v[29:30], v[3:4], v[46:47], -v[29:30]
	v_fma_f64 v[38:39], v[21:22], v[58:59], v[31:32]
	v_fma_f64 v[40:41], v[23:24], v[58:59], -v[33:34]
	v_fma_f64 v[23:24], v[1:2], v[46:47], v[35:36]
	v_add_f64 v[3:4], v[25:26], v[66:67]
	v_add_f64 v[21:22], v[27:28], v[50:51]
	v_add_f64 v[25:26], v[70:71], -v[29:30]
	v_add_f64 v[1:2], v[3:4], v[38:39]
	v_add_f64 v[3:4], v[21:22], v[40:41]
	;; [unrolled: 1-line block ×3, first 2 shown]
	v_mul_f64 v[27:28], v[25:26], s[48:49]
	v_mul_f64 v[31:32], v[25:26], s[24:25]
	;; [unrolled: 1-line block ×4, first 2 shown]
	v_add_f64 v[1:2], v[1:2], v[23:24]
	v_add_f64 v[3:4], v[3:4], v[29:30]
	;; [unrolled: 1-line block ×3, first 2 shown]
	v_add_f64 v[23:24], v[62:63], -v[23:24]
	v_fma_f64 v[35:36], v[21:22], s[34:35], v[27:28]
	v_fma_f64 v[42:43], v[21:22], s[26:27], v[31:32]
	v_mul_f64 v[46:47], v[25:26], s[10:11]
	v_mul_f64 v[52:53], v[25:26], s[28:29]
	;; [unrolled: 1-line block ×4, first 2 shown]
	v_fma_f64 v[60:61], v[21:22], s[6:7], v[44:45]
	v_fma_f64 v[44:45], v[21:22], s[6:7], -v[44:45]
	v_mul_f64 v[76:77], v[29:30], s[34:35]
	v_mul_f64 v[84:85], v[29:30], s[6:7]
	;; [unrolled: 1-line block ×3, first 2 shown]
	v_fma_f64 v[27:28], v[21:22], s[34:35], -v[27:28]
	v_fma_f64 v[31:32], v[21:22], s[26:27], -v[31:32]
	v_fma_f64 v[48:49], v[21:22], s[14:15], v[33:34]
	v_fma_f64 v[33:34], v[21:22], s[14:15], -v[33:34]
	v_fma_f64 v[62:63], v[21:22], s[20:21], v[46:47]
	;; [unrolled: 2-line block ×3, first 2 shown]
	v_fma_f64 v[52:53], v[21:22], s[30:31], -v[52:53]
	v_mul_f64 v[80:81], v[29:30], s[26:27]
	v_fma_f64 v[135:136], v[21:22], s[42:43], v[58:59]
	v_mul_f64 v[82:83], v[29:30], s[14:15]
	v_fma_f64 v[58:59], v[21:22], s[42:43], -v[58:59]
	v_fma_f64 v[137:138], v[21:22], s[58:59], v[25:26]
	v_fma_f64 v[139:140], v[21:22], s[58:59], -v[25:26]
	v_fma_f64 v[21:22], v[23:24], s[50:51], v[76:77]
	v_mul_f64 v[110:111], v[29:30], s[30:31]
	v_mul_f64 v[112:113], v[29:30], s[42:43]
	;; [unrolled: 1-line block ×3, first 2 shown]
	v_fma_f64 v[116:117], v[23:24], s[36:37], v[84:85]
	v_fma_f64 v[118:119], v[23:24], s[44:45], v[100:101]
	v_add_f64 v[151:152], v[5:6], v[35:36]
	v_add_f64 v[132:133], v[5:6], v[42:43]
	;; [unrolled: 1-line block ×3, first 2 shown]
	v_add_f64 v[44:45], v[74:75], -v[40:41]
	v_add_f64 v[42:43], v[74:75], v[40:41]
	v_fma_f64 v[25:26], v[23:24], s[48:49], v[76:77]
	v_fma_f64 v[76:77], v[23:24], s[46:47], v[80:81]
	;; [unrolled: 1-line block ×9, first 2 shown]
	v_add_f64 v[153:154], v[7:8], v[21:22]
	v_add_f64 v[21:22], v[7:8], v[116:117]
	;; [unrolled: 1-line block ×4, first 2 shown]
	v_add_f64 v[38:39], v[72:73], -v[38:39]
	v_mul_f64 v[118:119], v[44:45], s[24:25]
	v_mul_f64 v[116:117], v[42:43], s[26:27]
	v_add_f64 v[74:75], v[5:6], v[52:53]
	v_add_f64 v[52:53], v[96:97], -v[50:51]
	v_add_f64 v[50:51], v[96:97], v[50:51]
	v_fma_f64 v[80:81], v[23:24], s[24:25], v[80:81]
	v_fma_f64 v[100:101], v[23:24], s[10:11], v[100:101]
	v_fma_f64 v[145:146], v[23:24], s[54:55], v[112:113]
	v_fma_f64 v[147:148], v[23:24], s[38:39], v[112:113]
	v_add_f64 v[112:113], v[5:6], v[27:28]
	v_add_f64 v[110:111], v[7:8], v[25:26]
	;; [unrolled: 1-line block ×14, first 2 shown]
	v_fma_f64 v[96:97], v[40:41], s[26:27], v[118:119]
	v_fma_f64 v[135:136], v[38:39], s[46:47], v[116:117]
	v_add_f64 v[48:49], v[92:93], v[66:67]
	v_add_f64 v[46:47], v[92:93], -v[66:67]
	v_mul_f64 v[141:142], v[52:53], s[12:13]
	v_mul_f64 v[143:144], v[50:51], s[14:15]
	v_add_f64 v[60:61], v[78:79], -v[56:57]
	v_add_f64 v[128:129], v[5:6], v[31:32]
	v_add_f64 v[126:127], v[7:8], v[80:81]
	v_add_f64 v[31:32], v[5:6], v[62:63]
	v_add_f64 v[72:73], v[7:8], v[145:146]
	v_add_f64 v[62:63], v[5:6], v[58:59]
	v_add_f64 v[80:81], v[7:8], v[147:148]
	v_add_f64 v[92:93], v[96:97], v[151:152]
	v_add_f64 v[58:59], v[78:79], v[56:57]
	v_add_f64 v[96:97], v[135:136], v[153:154]
	v_fma_f64 v[135:136], v[48:49], s[14:15], v[141:142]
	v_fma_f64 v[145:146], v[46:47], s[40:41], v[143:144]
	v_add_f64 v[56:57], v[120:121], v[54:55]
	v_mul_f64 v[147:148], v[60:61], s[4:5]
	v_add_f64 v[66:67], v[64:65], -v[68:69]
	v_add_f64 v[54:55], v[120:121], -v[54:55]
	v_mul_f64 v[151:152], v[58:59], s[6:7]
	v_add_f64 v[78:79], v[5:6], v[137:138]
	v_add_f64 v[120:121], v[135:136], v[92:93]
	v_add_f64 v[68:69], v[64:65], v[68:69]
	v_add_f64 v[135:136], v[145:146], v[96:97]
	v_fma_f64 v[137:138], v[56:57], s[6:7], v[147:148]
	v_add_f64 v[64:65], v[86:87], v[88:89]
	v_mul_f64 v[145:146], v[66:67], s[10:11]
	v_add_f64 v[92:93], v[94:95], -v[98:99]
	v_fma_f64 v[153:154], v[54:55], s[36:37], v[151:152]
	v_add_f64 v[88:89], v[86:87], -v[88:89]
	v_mul_f64 v[155:156], v[68:69], s[20:21]
	v_add_f64 v[96:97], v[7:8], v[149:150]
	v_add_f64 v[120:121], v[137:138], v[120:121]
	;; [unrolled: 1-line block ×3, first 2 shown]
	v_fma_f64 v[137:138], v[64:65], s[20:21], v[145:146]
	v_add_f64 v[86:87], v[90:91], v[106:107]
	v_mul_f64 v[149:150], v[92:93], s[28:29]
	v_add_f64 v[135:136], v[153:154], v[135:136]
	v_fma_f64 v[153:154], v[88:89], s[44:45], v[155:156]
	v_add_f64 v[98:99], v[5:6], v[139:140]
	v_add_f64 v[90:91], v[90:91], -v[106:107]
	v_mul_f64 v[5:6], v[94:95], s[30:31]
	v_fma_f64 v[118:119], v[40:41], s[26:27], -v[118:119]
	v_add_f64 v[137:138], v[137:138], v[120:121]
	v_fma_f64 v[139:140], v[86:87], s[30:31], v[149:150]
	v_fma_f64 v[116:117], v[38:39], s[24:25], v[116:117]
	v_add_f64 v[100:101], v[7:8], v[100:101]
	v_add_f64 v[120:121], v[7:8], v[114:115]
	;; [unrolled: 1-line block ×3, first 2 shown]
	v_fma_f64 v[135:136], v[90:91], s[52:53], v[5:6]
	v_add_f64 v[112:113], v[118:119], v[112:113]
	v_fma_f64 v[118:119], v[48:49], s[14:15], -v[141:142]
	v_add_f64 v[137:138], v[139:140], v[137:138]
	v_add_f64 v[139:140], v[116:117], v[110:111]
	v_fma_f64 v[141:142], v[46:47], s[12:13], v[143:144]
	v_add_f64 v[106:107], v[17:18], -v[104:105]
	v_add_f64 v[114:115], v[17:18], v[104:105]
	v_add_f64 v[7:8], v[135:136], v[7:8]
	v_fma_f64 v[135:136], v[56:57], s[6:7], -v[147:148]
	v_add_f64 v[112:113], v[118:119], v[112:113]
	v_add_f64 v[104:105], v[13:14], v[108:109]
	v_add_f64 v[110:111], v[13:14], -v[108:109]
	v_add_f64 v[139:140], v[141:142], v[139:140]
	v_fma_f64 v[141:142], v[54:55], s[4:5], v[151:152]
	v_mul_f64 v[17:18], v[106:107], s[38:39]
	v_mul_f64 v[13:14], v[114:115], s[42:43]
	v_add_f64 v[116:117], v[11:12], -v[19:20]
	v_add_f64 v[118:119], v[11:12], v[19:20]
	v_add_f64 v[11:12], v[135:136], v[112:113]
	v_fma_f64 v[19:20], v[64:65], s[20:21], -v[145:146]
	v_add_f64 v[112:113], v[9:10], v[15:16]
	v_add_f64 v[108:109], v[9:10], -v[15:16]
	v_add_f64 v[9:10], v[141:142], v[139:140]
	v_fma_f64 v[139:140], v[88:89], s[10:11], v[155:156]
	v_fma_f64 v[143:144], v[104:105], s[42:43], v[17:18]
	;; [unrolled: 1-line block ×3, first 2 shown]
	v_mul_f64 v[15:16], v[116:117], s[56:57]
	v_mul_f64 v[141:142], v[118:119], s[58:59]
	v_add_f64 v[11:12], v[19:20], v[11:12]
	v_fma_f64 v[19:20], v[86:87], s[30:31], -v[149:150]
	v_fma_f64 v[5:6], v[90:91], s[28:29], v[5:6]
	v_add_f64 v[139:140], v[139:140], v[9:10]
	v_add_f64 v[137:138], v[143:144], v[137:138]
	;; [unrolled: 1-line block ×3, first 2 shown]
	v_fma_f64 v[135:136], v[112:113], s[58:59], v[15:16]
	v_mul_f64 v[143:144], v[44:45], s[4:5]
	v_fma_f64 v[145:146], v[108:109], s[60:61], v[141:142]
	v_add_f64 v[19:20], v[19:20], v[11:12]
	v_fma_f64 v[17:18], v[104:105], s[42:43], -v[17:18]
	v_mul_f64 v[147:148], v[42:43], s[6:7]
	v_add_f64 v[5:6], v[5:6], v[139:140]
	v_fma_f64 v[13:14], v[110:111], s[38:39], v[13:14]
	v_add_f64 v[9:10], v[135:136], v[137:138]
	v_fma_f64 v[135:136], v[40:41], s[6:7], v[143:144]
	v_mul_f64 v[137:138], v[52:53], s[28:29]
	v_add_f64 v[11:12], v[145:146], v[7:8]
	v_add_f64 v[7:8], v[17:18], v[19:20]
	v_fma_f64 v[17:18], v[38:39], s[36:37], v[147:148]
	v_mul_f64 v[19:20], v[50:51], s[30:31]
	v_add_f64 v[13:14], v[13:14], v[5:6]
	v_fma_f64 v[5:6], v[112:113], s[58:59], -v[15:16]
	v_fma_f64 v[15:16], v[108:109], s[56:57], v[141:142]
	v_add_f64 v[132:133], v[135:136], v[132:133]
	v_fma_f64 v[135:136], v[48:49], s[30:31], v[137:138]
	v_mul_f64 v[139:140], v[60:61], s[56:57]
	v_add_f64 v[17:18], v[17:18], v[130:131]
	v_fma_f64 v[130:131], v[46:47], s[52:53], v[19:20]
	v_mul_f64 v[141:142], v[58:59], s[58:59]
	v_add_f64 v[5:6], v[5:6], v[7:8]
	v_add_f64 v[7:8], v[15:16], v[13:14]
	v_fma_f64 v[13:14], v[40:41], s[6:7], -v[143:144]
	v_add_f64 v[132:133], v[135:136], v[132:133]
	v_fma_f64 v[135:136], v[56:57], s[58:59], v[139:140]
	v_mul_f64 v[145:146], v[66:67], s[54:55]
	v_add_f64 v[15:16], v[130:131], v[17:18]
	v_fma_f64 v[17:18], v[54:55], s[60:61], v[141:142]
	v_mul_f64 v[130:131], v[68:69], s[42:43]
	v_fma_f64 v[143:144], v[38:39], s[4:5], v[147:148]
	v_add_f64 v[13:14], v[13:14], v[128:129]
	v_fma_f64 v[128:129], v[48:49], s[30:31], -v[137:138]
	v_add_f64 v[132:133], v[135:136], v[132:133]
	v_fma_f64 v[135:136], v[64:65], s[42:43], v[145:146]
	v_mul_f64 v[147:148], v[92:93], s[44:45]
	v_add_f64 v[15:16], v[17:18], v[15:16]
	v_fma_f64 v[17:18], v[88:89], s[38:39], v[130:131]
	v_mul_f64 v[137:138], v[94:95], s[20:21]
	v_add_f64 v[126:127], v[143:144], v[126:127]
	v_fma_f64 v[19:20], v[46:47], s[28:29], v[19:20]
	v_add_f64 v[13:14], v[128:129], v[13:14]
	v_fma_f64 v[128:129], v[56:57], s[58:59], -v[139:140]
	v_add_f64 v[132:133], v[135:136], v[132:133]
	v_fma_f64 v[135:136], v[86:87], s[20:21], v[147:148]
	v_add_f64 v[15:16], v[17:18], v[15:16]
	v_fma_f64 v[17:18], v[90:91], s[10:11], v[137:138]
	v_mul_f64 v[139:140], v[106:107], s[40:41]
	v_mul_f64 v[143:144], v[114:115], s[14:15]
	v_add_f64 v[19:20], v[19:20], v[126:127]
	v_fma_f64 v[126:127], v[54:55], s[56:57], v[141:142]
	v_add_f64 v[13:14], v[128:129], v[13:14]
	v_fma_f64 v[128:129], v[64:65], s[42:43], -v[145:146]
	v_add_f64 v[132:133], v[135:136], v[132:133]
	v_add_f64 v[15:16], v[17:18], v[15:16]
	v_fma_f64 v[17:18], v[104:105], s[14:15], v[139:140]
	v_fma_f64 v[135:136], v[110:111], s[12:13], v[143:144]
	v_mul_f64 v[141:142], v[116:117], s[50:51]
	v_add_f64 v[19:20], v[126:127], v[19:20]
	v_fma_f64 v[126:127], v[88:89], s[54:55], v[130:131]
	v_mul_f64 v[130:131], v[118:119], s[34:35]
	v_add_f64 v[13:14], v[128:129], v[13:14]
	v_fma_f64 v[128:129], v[86:87], s[20:21], -v[147:148]
	v_add_f64 v[17:18], v[17:18], v[132:133]
	v_add_f64 v[15:16], v[135:136], v[15:16]
	v_fma_f64 v[132:133], v[112:113], s[34:35], v[141:142]
	v_mul_f64 v[135:136], v[44:45], s[28:29]
	v_add_f64 v[19:20], v[126:127], v[19:20]
	v_fma_f64 v[126:127], v[90:91], s[44:45], v[137:138]
	v_fma_f64 v[137:138], v[108:109], s[48:49], v[130:131]
	v_add_f64 v[13:14], v[128:129], v[13:14]
	v_fma_f64 v[128:129], v[104:105], s[14:15], -v[139:140]
	v_mul_f64 v[139:140], v[42:43], s[30:31]
	v_add_f64 v[17:18], v[132:133], v[17:18]
	v_fma_f64 v[132:133], v[40:41], s[30:31], v[135:136]
	v_mul_f64 v[145:146], v[52:53], s[60:61]
	v_add_f64 v[126:127], v[126:127], v[19:20]
	v_fma_f64 v[143:144], v[110:111], s[40:41], v[143:144]
	v_add_f64 v[19:20], v[137:138], v[15:16]
	v_add_f64 v[13:14], v[128:129], v[13:14]
	v_fma_f64 v[15:16], v[38:39], s[52:53], v[139:140]
	v_mul_f64 v[128:129], v[50:51], s[58:59]
	v_add_f64 v[124:125], v[132:133], v[124:125]
	v_fma_f64 v[132:133], v[48:49], s[58:59], v[145:146]
	v_mul_f64 v[137:138], v[60:61], s[44:45]
	v_add_f64 v[126:127], v[143:144], v[126:127]
	v_fma_f64 v[130:131], v[108:109], s[50:51], v[130:131]
	v_mul_f64 v[147:148], v[58:59], s[20:21]
	v_add_f64 v[122:123], v[15:16], v[122:123]
	v_fma_f64 v[143:144], v[46:47], s[56:57], v[128:129]
	v_fma_f64 v[141:142], v[112:113], s[34:35], -v[141:142]
	v_add_f64 v[124:125], v[132:133], v[124:125]
	v_fma_f64 v[132:133], v[56:57], s[20:21], v[137:138]
	v_mul_f64 v[149:150], v[66:67], s[46:47]
	v_add_f64 v[15:16], v[130:131], v[126:127]
	v_fma_f64 v[126:127], v[40:41], s[30:31], -v[135:136]
	v_fma_f64 v[130:131], v[54:55], s[10:11], v[147:148]
	v_add_f64 v[122:123], v[143:144], v[122:123]
	v_mul_f64 v[135:136], v[68:69], s[26:27]
	v_fma_f64 v[139:140], v[38:39], s[28:29], v[139:140]
	v_add_f64 v[13:14], v[141:142], v[13:14]
	v_add_f64 v[124:125], v[132:133], v[124:125]
	v_fma_f64 v[132:133], v[64:65], s[26:27], v[149:150]
	v_mul_f64 v[141:142], v[92:93], s[48:49]
	v_add_f64 v[27:28], v[126:127], v[27:28]
	v_fma_f64 v[126:127], v[48:49], s[58:59], -v[145:146]
	v_add_f64 v[122:123], v[130:131], v[122:123]
	v_fma_f64 v[130:131], v[88:89], s[24:25], v[135:136]
	v_mul_f64 v[143:144], v[94:95], s[34:35]
	v_add_f64 v[25:26], v[139:140], v[25:26]
	v_fma_f64 v[128:129], v[46:47], s[60:61], v[128:129]
	v_add_f64 v[124:125], v[132:133], v[124:125]
	v_fma_f64 v[132:133], v[86:87], s[34:35], v[141:142]
	v_add_f64 v[27:28], v[126:127], v[27:28]
	v_fma_f64 v[126:127], v[56:57], s[20:21], -v[137:138]
	v_add_f64 v[122:123], v[130:131], v[122:123]
	v_fma_f64 v[130:131], v[90:91], s[50:51], v[143:144]
	v_mul_f64 v[137:138], v[106:107], s[4:5]
	v_mul_f64 v[139:140], v[114:115], s[6:7]
	v_add_f64 v[25:26], v[128:129], v[25:26]
	v_fma_f64 v[128:129], v[54:55], s[44:45], v[147:148]
	v_add_f64 v[124:125], v[132:133], v[124:125]
	v_add_f64 v[27:28], v[126:127], v[27:28]
	v_fma_f64 v[126:127], v[64:65], s[26:27], -v[149:150]
	v_add_f64 v[122:123], v[130:131], v[122:123]
	v_fma_f64 v[130:131], v[104:105], s[6:7], v[137:138]
	v_fma_f64 v[132:133], v[110:111], s[36:37], v[139:140]
	v_mul_f64 v[145:146], v[116:117], s[38:39]
	v_add_f64 v[25:26], v[128:129], v[25:26]
	v_fma_f64 v[128:129], v[88:89], s[46:47], v[135:136]
	v_mul_f64 v[135:136], v[118:119], s[42:43]
	v_add_f64 v[27:28], v[126:127], v[27:28]
	v_fma_f64 v[126:127], v[86:87], s[34:35], -v[141:142]
	v_add_f64 v[124:125], v[130:131], v[124:125]
	v_add_f64 v[122:123], v[132:133], v[122:123]
	v_fma_f64 v[130:131], v[112:113], s[42:43], v[145:146]
	v_mul_f64 v[132:133], v[44:45], s[56:57]
	v_add_f64 v[128:129], v[128:129], v[25:26]
	v_fma_f64 v[141:142], v[90:91], s[48:49], v[143:144]
	v_fma_f64 v[143:144], v[108:109], s[54:55], v[135:136]
	v_add_f64 v[126:127], v[126:127], v[27:28]
	v_fma_f64 v[137:138], v[104:105], s[6:7], -v[137:138]
	v_mul_f64 v[147:148], v[42:43], s[58:59]
	v_add_f64 v[25:26], v[130:131], v[124:125]
	v_fma_f64 v[124:125], v[40:41], s[58:59], v[132:133]
	v_mul_f64 v[130:131], v[52:53], s[44:45]
	v_add_f64 v[128:129], v[141:142], v[128:129]
	v_fma_f64 v[139:140], v[110:111], s[4:5], v[139:140]
	v_add_f64 v[27:28], v[143:144], v[122:123]
	v_add_f64 v[122:123], v[137:138], v[126:127]
	v_fma_f64 v[126:127], v[38:39], s[60:61], v[147:148]
	v_mul_f64 v[137:138], v[50:51], s[20:21]
	v_add_f64 v[23:24], v[124:125], v[23:24]
	v_fma_f64 v[124:125], v[48:49], s[20:21], v[130:131]
	v_mul_f64 v[141:142], v[60:61], s[50:51]
	v_add_f64 v[128:129], v[139:140], v[128:129]
	v_fma_f64 v[139:140], v[112:113], s[42:43], -v[145:146]
	v_fma_f64 v[135:136], v[108:109], s[38:39], v[135:136]
	v_add_f64 v[126:127], v[126:127], v[21:22]
	v_fma_f64 v[143:144], v[46:47], s[10:11], v[137:138]
	v_mul_f64 v[145:146], v[58:59], s[34:35]
	v_add_f64 v[124:125], v[124:125], v[23:24]
	v_fma_f64 v[149:150], v[56:57], s[34:35], v[141:142]
	v_mul_f64 v[151:152], v[66:67], s[12:13]
	v_add_f64 v[21:22], v[139:140], v[122:123]
	v_fma_f64 v[122:123], v[40:41], s[58:59], -v[132:133]
	v_add_f64 v[23:24], v[135:136], v[128:129]
	v_add_f64 v[126:127], v[143:144], v[126:127]
	v_fma_f64 v[128:129], v[54:55], s[48:49], v[145:146]
	v_mul_f64 v[132:133], v[68:69], s[14:15]
	v_add_f64 v[124:125], v[149:150], v[124:125]
	v_fma_f64 v[135:136], v[64:65], s[14:15], v[151:152]
	v_fma_f64 v[139:140], v[38:39], s[56:57], v[147:148]
	v_add_f64 v[35:36], v[122:123], v[35:36]
	v_fma_f64 v[122:123], v[48:49], s[20:21], -v[130:131]
	v_mul_f64 v[143:144], v[92:93], s[38:39]
	v_add_f64 v[126:127], v[128:129], v[126:127]
	v_fma_f64 v[128:129], v[88:89], s[40:41], v[132:133]
	v_mul_f64 v[130:131], v[94:95], s[42:43]
	v_add_f64 v[124:125], v[135:136], v[124:125]
	v_add_f64 v[33:34], v[139:140], v[33:34]
	v_fma_f64 v[135:136], v[46:47], s[44:45], v[137:138]
	v_add_f64 v[35:36], v[122:123], v[35:36]
	v_fma_f64 v[122:123], v[56:57], s[34:35], -v[141:142]
	v_fma_f64 v[137:138], v[86:87], s[42:43], v[143:144]
	v_add_f64 v[126:127], v[128:129], v[126:127]
	v_fma_f64 v[128:129], v[90:91], s[54:55], v[130:131]
	v_mul_f64 v[139:140], v[106:107], s[52:53]
	v_mul_f64 v[141:142], v[114:115], s[30:31]
	v_add_f64 v[33:34], v[135:136], v[33:34]
	v_fma_f64 v[135:136], v[54:55], s[50:51], v[145:146]
	v_add_f64 v[35:36], v[122:123], v[35:36]
	v_fma_f64 v[122:123], v[64:65], s[14:15], -v[151:152]
	v_add_f64 v[124:125], v[137:138], v[124:125]
	v_add_f64 v[126:127], v[128:129], v[126:127]
	v_fma_f64 v[128:129], v[104:105], s[30:31], v[139:140]
	v_fma_f64 v[137:138], v[110:111], s[28:29], v[141:142]
	v_mul_f64 v[145:146], v[116:117], s[46:47]
	v_add_f64 v[33:34], v[135:136], v[33:34]
	v_fma_f64 v[132:133], v[88:89], s[12:13], v[132:133]
	v_mul_f64 v[135:136], v[118:119], s[26:27]
	v_add_f64 v[35:36], v[122:123], v[35:36]
	v_fma_f64 v[122:123], v[86:87], s[42:43], -v[143:144]
	v_add_f64 v[124:125], v[128:129], v[124:125]
	v_add_f64 v[126:127], v[137:138], v[126:127]
	v_fma_f64 v[128:129], v[112:113], s[26:27], v[145:146]
	v_mul_f64 v[137:138], v[44:45], s[54:55]
	v_add_f64 v[132:133], v[132:133], v[33:34]
	v_fma_f64 v[130:131], v[90:91], s[38:39], v[130:131]
	v_fma_f64 v[143:144], v[108:109], s[24:25], v[135:136]
	v_add_f64 v[122:123], v[122:123], v[35:36]
	v_fma_f64 v[139:140], v[104:105], s[30:31], -v[139:140]
	v_mul_f64 v[147:148], v[42:43], s[42:43]
	v_add_f64 v[33:34], v[128:129], v[124:125]
	v_fma_f64 v[124:125], v[40:41], s[42:43], v[137:138]
	v_mul_f64 v[128:129], v[52:53], s[46:47]
	v_add_f64 v[130:131], v[130:131], v[132:133]
	v_fma_f64 v[132:133], v[110:111], s[52:53], v[141:142]
	v_add_f64 v[35:36], v[143:144], v[126:127]
	v_add_f64 v[122:123], v[139:140], v[122:123]
	v_fma_f64 v[126:127], v[38:39], s[38:39], v[147:148]
	v_mul_f64 v[139:140], v[50:51], s[26:27]
	v_add_f64 v[31:32], v[124:125], v[31:32]
	v_fma_f64 v[124:125], v[48:49], s[26:27], v[128:129]
	v_mul_f64 v[141:142], v[60:61], s[12:13]
	v_add_f64 v[130:131], v[132:133], v[130:131]
	v_fma_f64 v[132:133], v[112:113], s[26:27], -v[145:146]
	v_fma_f64 v[135:136], v[108:109], s[46:47], v[135:136]
	v_add_f64 v[126:127], v[126:127], v[29:30]
	v_fma_f64 v[143:144], v[46:47], s[24:25], v[139:140]
	v_mul_f64 v[145:146], v[58:59], s[14:15]
	v_add_f64 v[124:125], v[124:125], v[31:32]
	v_fma_f64 v[149:150], v[56:57], s[14:15], v[141:142]
	v_mul_f64 v[151:152], v[66:67], s[56:57]
	v_add_f64 v[29:30], v[132:133], v[122:123]
	v_add_f64 v[31:32], v[135:136], v[130:131]
	v_fma_f64 v[122:123], v[40:41], s[42:43], -v[137:138]
	v_add_f64 v[126:127], v[143:144], v[126:127]
	v_fma_f64 v[130:131], v[54:55], s[40:41], v[145:146]
	v_mul_f64 v[132:133], v[68:69], s[58:59]
	v_add_f64 v[124:125], v[149:150], v[124:125]
	v_fma_f64 v[135:136], v[64:65], s[58:59], v[151:152]
	v_fma_f64 v[137:138], v[38:39], s[54:55], v[147:148]
	v_mul_f64 v[143:144], v[92:93], s[36:37]
	v_add_f64 v[102:103], v[122:123], v[102:103]
	v_fma_f64 v[122:123], v[48:49], s[26:27], -v[128:129]
	v_add_f64 v[126:127], v[130:131], v[126:127]
	v_fma_f64 v[128:129], v[88:89], s[60:61], v[132:133]
	v_mul_f64 v[130:131], v[94:95], s[6:7]
	v_add_f64 v[124:125], v[135:136], v[124:125]
	v_add_f64 v[100:101], v[137:138], v[100:101]
	v_fma_f64 v[135:136], v[46:47], s[46:47], v[139:140]
	v_fma_f64 v[137:138], v[86:87], s[6:7], v[143:144]
	v_add_f64 v[102:103], v[122:123], v[102:103]
	v_fma_f64 v[122:123], v[56:57], s[14:15], -v[141:142]
	v_add_f64 v[126:127], v[128:129], v[126:127]
	v_fma_f64 v[128:129], v[90:91], s[4:5], v[130:131]
	v_mul_f64 v[139:140], v[106:107], s[48:49]
	v_mul_f64 v[141:142], v[114:115], s[34:35]
	v_add_f64 v[100:101], v[135:136], v[100:101]
	v_fma_f64 v[135:136], v[54:55], s[12:13], v[145:146]
	v_add_f64 v[124:125], v[137:138], v[124:125]
	v_add_f64 v[102:103], v[122:123], v[102:103]
	v_fma_f64 v[122:123], v[64:65], s[58:59], -v[151:152]
	v_add_f64 v[126:127], v[128:129], v[126:127]
	v_fma_f64 v[128:129], v[104:105], s[34:35], v[139:140]
	v_fma_f64 v[137:138], v[110:111], s[50:51], v[141:142]
	v_mul_f64 v[145:146], v[116:117], s[28:29]
	v_add_f64 v[100:101], v[135:136], v[100:101]
	v_fma_f64 v[132:133], v[88:89], s[56:57], v[132:133]
	v_mul_f64 v[135:136], v[118:119], s[30:31]
	v_add_f64 v[102:103], v[122:123], v[102:103]
	v_fma_f64 v[122:123], v[86:87], s[6:7], -v[143:144]
	v_add_f64 v[124:125], v[128:129], v[124:125]
	v_add_f64 v[126:127], v[137:138], v[126:127]
	v_fma_f64 v[128:129], v[112:113], s[30:31], v[145:146]
	v_mul_f64 v[137:138], v[44:45], s[44:45]
	v_add_f64 v[132:133], v[132:133], v[100:101]
	v_fma_f64 v[130:131], v[90:91], s[36:37], v[130:131]
	v_fma_f64 v[143:144], v[108:109], s[52:53], v[135:136]
	v_add_f64 v[122:123], v[122:123], v[102:103]
	v_fma_f64 v[139:140], v[104:105], s[34:35], -v[139:140]
	v_mul_f64 v[147:148], v[42:43], s[20:21]
	v_add_f64 v[100:101], v[128:129], v[124:125]
	v_fma_f64 v[124:125], v[40:41], s[20:21], v[137:138]
	v_mul_f64 v[128:129], v[52:53], s[48:49]
	v_add_f64 v[130:131], v[130:131], v[132:133]
	v_fma_f64 v[132:133], v[110:111], s[48:49], v[141:142]
	v_add_f64 v[102:103], v[143:144], v[126:127]
	v_add_f64 v[122:123], v[139:140], v[122:123]
	v_fma_f64 v[126:127], v[38:39], s[10:11], v[147:148]
	v_mul_f64 v[139:140], v[50:51], s[34:35]
	v_add_f64 v[84:85], v[124:125], v[84:85]
	v_fma_f64 v[124:125], v[48:49], s[34:35], v[128:129]
	v_mul_f64 v[141:142], v[60:61], s[38:39]
	v_add_f64 v[130:131], v[132:133], v[130:131]
	v_fma_f64 v[132:133], v[112:113], s[30:31], -v[145:146]
	v_fma_f64 v[135:136], v[108:109], s[28:29], v[135:136]
	v_add_f64 v[126:127], v[126:127], v[82:83]
	v_fma_f64 v[143:144], v[46:47], s[50:51], v[139:140]
	v_mul_f64 v[145:146], v[58:59], s[42:43]
	v_add_f64 v[124:125], v[124:125], v[84:85]
	v_fma_f64 v[149:150], v[56:57], s[42:43], v[141:142]
	v_mul_f64 v[151:152], v[66:67], s[36:37]
	v_add_f64 v[82:83], v[132:133], v[122:123]
	v_add_f64 v[84:85], v[135:136], v[130:131]
	v_fma_f64 v[122:123], v[40:41], s[20:21], -v[137:138]
	v_add_f64 v[126:127], v[143:144], v[126:127]
	v_fma_f64 v[130:131], v[54:55], s[54:55], v[145:146]
	v_mul_f64 v[132:133], v[68:69], s[6:7]
	v_add_f64 v[124:125], v[149:150], v[124:125]
	v_fma_f64 v[135:136], v[64:65], s[6:7], v[151:152]
	v_mul_f64 v[137:138], v[92:93], s[24:25]
	v_fma_f64 v[143:144], v[38:39], s[44:45], v[147:148]
	v_add_f64 v[74:75], v[122:123], v[74:75]
	v_fma_f64 v[122:123], v[48:49], s[34:35], -v[128:129]
	v_add_f64 v[126:127], v[130:131], v[126:127]
	v_fma_f64 v[128:129], v[88:89], s[4:5], v[132:133]
	v_mul_f64 v[130:131], v[94:95], s[26:27]
	v_add_f64 v[124:125], v[135:136], v[124:125]
	v_fma_f64 v[135:136], v[86:87], s[26:27], v[137:138]
	v_add_f64 v[70:71], v[143:144], v[70:71]
	v_fma_f64 v[139:140], v[46:47], s[48:49], v[139:140]
	v_add_f64 v[74:75], v[122:123], v[74:75]
	v_fma_f64 v[122:123], v[56:57], s[42:43], -v[141:142]
	v_add_f64 v[126:127], v[128:129], v[126:127]
	v_fma_f64 v[128:129], v[90:91], s[46:47], v[130:131]
	v_mul_f64 v[141:142], v[106:107], s[56:57]
	v_add_f64 v[124:125], v[135:136], v[124:125]
	v_mul_f64 v[135:136], v[114:115], s[58:59]
	v_add_f64 v[70:71], v[139:140], v[70:71]
	v_fma_f64 v[139:140], v[54:55], s[38:39], v[145:146]
	v_add_f64 v[74:75], v[122:123], v[74:75]
	v_fma_f64 v[122:123], v[64:65], s[6:7], -v[151:152]
	v_add_f64 v[126:127], v[128:129], v[126:127]
	v_fma_f64 v[128:129], v[104:105], s[58:59], v[141:142]
	v_mul_f64 v[143:144], v[116:117], s[40:41]
	v_fma_f64 v[145:146], v[110:111], s[60:61], v[135:136]
	v_mul_f64 v[147:148], v[118:119], s[14:15]
	v_add_f64 v[70:71], v[139:140], v[70:71]
	v_fma_f64 v[132:133], v[88:89], s[36:37], v[132:133]
	v_add_f64 v[74:75], v[122:123], v[74:75]
	v_fma_f64 v[122:123], v[86:87], s[26:27], -v[137:138]
	v_add_f64 v[124:125], v[128:129], v[124:125]
	v_fma_f64 v[128:129], v[112:113], s[14:15], v[143:144]
	v_add_f64 v[126:127], v[145:146], v[126:127]
	v_fma_f64 v[137:138], v[108:109], s[12:13], v[147:148]
	v_mul_f64 v[139:140], v[44:45], s[40:41]
	v_add_f64 v[70:71], v[132:133], v[70:71]
	v_fma_f64 v[130:131], v[90:91], s[24:25], v[130:131]
	v_add_f64 v[74:75], v[122:123], v[74:75]
	v_fma_f64 v[132:133], v[104:105], s[58:59], -v[141:142]
	v_add_f64 v[122:123], v[128:129], v[124:125]
	v_mul_f64 v[128:129], v[42:43], s[14:15]
	v_add_f64 v[124:125], v[137:138], v[126:127]
	v_fma_f64 v[126:127], v[40:41], s[14:15], v[139:140]
	v_mul_f64 v[137:138], v[52:53], s[4:5]
	v_add_f64 v[70:71], v[130:131], v[70:71]
	v_fma_f64 v[130:131], v[110:111], s[56:57], v[135:136]
	v_add_f64 v[74:75], v[132:133], v[74:75]
	v_fma_f64 v[132:133], v[112:113], s[14:15], -v[143:144]
	v_fma_f64 v[135:136], v[38:39], s[12:13], v[128:129]
	v_mul_f64 v[141:142], v[50:51], s[6:7]
	v_add_f64 v[76:77], v[126:127], v[76:77]
	v_fma_f64 v[126:127], v[48:49], s[6:7], v[137:138]
	v_mul_f64 v[143:144], v[60:61], s[52:53]
	v_add_f64 v[130:131], v[130:131], v[70:71]
	v_fma_f64 v[145:146], v[108:109], s[40:41], v[147:148]
	v_add_f64 v[70:71], v[132:133], v[74:75]
	v_add_f64 v[74:75], v[135:136], v[72:73]
	v_fma_f64 v[132:133], v[46:47], s[36:37], v[141:142]
	v_mul_f64 v[135:136], v[58:59], s[30:31]
	v_add_f64 v[76:77], v[126:127], v[76:77]
	v_fma_f64 v[126:127], v[56:57], s[30:31], v[143:144]
	v_mul_f64 v[147:148], v[66:67], s[48:49]
	v_fma_f64 v[139:140], v[40:41], s[14:15], -v[139:140]
	v_fma_f64 v[128:129], v[38:39], s[40:41], v[128:129]
	v_add_f64 v[72:73], v[145:146], v[130:131]
	v_add_f64 v[74:75], v[132:133], v[74:75]
	v_fma_f64 v[130:131], v[54:55], s[28:29], v[135:136]
	v_mul_f64 v[132:133], v[68:69], s[34:35]
	v_add_f64 v[76:77], v[126:127], v[76:77]
	v_fma_f64 v[126:127], v[64:65], s[34:35], v[147:148]
	v_add_f64 v[62:63], v[139:140], v[62:63]
	v_fma_f64 v[137:138], v[48:49], s[6:7], -v[137:138]
	v_add_f64 v[80:81], v[128:129], v[80:81]
	v_fma_f64 v[128:129], v[46:47], s[4:5], v[141:142]
	v_add_f64 v[74:75], v[130:131], v[74:75]
	v_fma_f64 v[130:131], v[88:89], s[50:51], v[132:133]
	v_mul_f64 v[139:140], v[92:93], s[56:57]
	v_add_f64 v[76:77], v[126:127], v[76:77]
	v_fma_f64 v[126:127], v[56:57], s[30:31], -v[143:144]
	v_add_f64 v[62:63], v[137:138], v[62:63]
	v_mul_f64 v[141:142], v[94:95], s[58:59]
	v_add_f64 v[80:81], v[128:129], v[80:81]
	v_fma_f64 v[128:129], v[54:55], s[52:53], v[135:136]
	v_add_f64 v[74:75], v[130:131], v[74:75]
	v_fma_f64 v[130:131], v[86:87], s[58:59], v[139:140]
	v_mul_f64 v[137:138], v[106:107], s[46:47]
	v_mul_f64 v[44:45], v[44:45], s[50:51]
	v_add_f64 v[62:63], v[126:127], v[62:63]
	v_fma_f64 v[126:127], v[64:65], s[34:35], -v[147:148]
	v_mul_f64 v[42:43], v[42:43], s[34:35]
	v_add_f64 v[80:81], v[128:129], v[80:81]
	v_fma_f64 v[128:129], v[88:89], s[48:49], v[132:133]
	v_add_f64 v[76:77], v[130:131], v[76:77]
	v_fma_f64 v[130:131], v[104:105], s[26:27], v[137:138]
	v_mul_f64 v[143:144], v[114:115], s[26:27]
	v_mul_f64 v[52:53], v[52:53], s[38:39]
	v_add_f64 v[62:63], v[126:127], v[62:63]
	v_fma_f64 v[126:127], v[86:87], s[58:59], -v[139:140]
	v_mul_f64 v[50:51], v[50:51], s[42:43]
	v_add_f64 v[80:81], v[128:129], v[80:81]
	v_fma_f64 v[128:129], v[90:91], s[56:57], v[141:142]
	v_add_f64 v[76:77], v[130:131], v[76:77]
	v_fma_f64 v[130:131], v[40:41], s[34:35], v[44:45]
	v_fma_f64 v[40:41], v[40:41], s[34:35], -v[44:45]
	v_mul_f64 v[44:45], v[60:61], s[46:47]
	v_add_f64 v[62:63], v[126:127], v[62:63]
	v_fma_f64 v[126:127], v[104:105], s[26:27], -v[137:138]
	v_mul_f64 v[66:67], v[66:67], s[28:29]
	v_add_f64 v[80:81], v[128:129], v[80:81]
	v_fma_f64 v[128:129], v[38:39], s[48:49], v[42:43]
	v_fma_f64 v[38:39], v[38:39], s[50:51], v[42:43]
	v_add_f64 v[78:79], v[130:131], v[78:79]
	v_fma_f64 v[130:131], v[48:49], s[42:43], v[52:53]
	v_add_f64 v[40:41], v[40:41], v[98:99]
	v_add_f64 v[60:61], v[126:127], v[62:63]
	v_fma_f64 v[62:63], v[110:111], s[46:47], v[143:144]
	v_fma_f64 v[126:127], v[46:47], s[54:55], v[50:51]
	v_add_f64 v[96:97], v[128:129], v[96:97]
	v_fma_f64 v[48:49], v[48:49], s[42:43], -v[52:53]
	v_mul_f64 v[52:53], v[58:59], s[26:27]
	v_add_f64 v[38:39], v[38:39], v[120:121]
	v_fma_f64 v[46:47], v[46:47], s[38:39], v[50:51]
	v_add_f64 v[42:43], v[130:131], v[78:79]
	v_fma_f64 v[78:79], v[56:57], s[26:27], v[44:45]
	v_add_f64 v[58:59], v[62:63], v[80:81]
	v_add_f64 v[62:63], v[126:127], v[96:97]
	;; [unrolled: 1-line block ×3, first 2 shown]
	v_fma_f64 v[48:49], v[54:55], s[24:25], v[52:53]
	v_fma_f64 v[44:45], v[56:57], s[26:27], -v[44:45]
	v_mul_f64 v[56:57], v[68:69], s[30:31]
	v_add_f64 v[38:39], v[46:47], v[38:39]
	v_fma_f64 v[52:53], v[54:55], s[46:47], v[52:53]
	v_add_f64 v[42:43], v[78:79], v[42:43]
	v_mul_f64 v[68:69], v[92:93], s[40:41]
	v_mul_f64 v[78:79], v[94:95], s[14:15]
	v_add_f64 v[48:49], v[48:49], v[62:63]
	v_fma_f64 v[62:63], v[64:65], s[30:31], v[66:67]
	v_add_f64 v[40:41], v[44:45], v[40:41]
	v_fma_f64 v[44:45], v[88:89], s[52:53], v[56:57]
	v_add_f64 v[38:39], v[52:53], v[38:39]
	v_fma_f64 v[64:65], v[64:65], s[30:31], -v[66:67]
	v_fma_f64 v[56:57], v[88:89], s[28:29], v[56:57]
	v_fma_f64 v[135:136], v[90:91], s[60:61], v[141:142]
	v_mul_f64 v[66:67], v[106:107], s[10:11]
	v_add_f64 v[42:43], v[62:63], v[42:43]
	v_fma_f64 v[62:63], v[90:91], s[12:13], v[78:79]
	v_add_f64 v[44:45], v[44:45], v[48:49]
	v_fma_f64 v[48:49], v[86:87], s[14:15], v[68:69]
	v_mul_f64 v[80:81], v[114:115], s[20:21]
	v_add_f64 v[40:41], v[64:65], v[40:41]
	v_add_f64 v[38:39], v[56:57], v[38:39]
	v_fma_f64 v[56:57], v[86:87], s[14:15], -v[68:69]
	v_fma_f64 v[64:65], v[90:91], s[40:41], v[78:79]
	v_add_f64 v[74:75], v[135:136], v[74:75]
	v_fma_f64 v[132:133], v[110:111], s[24:25], v[143:144]
	v_mul_f64 v[50:51], v[116:117], s[10:11]
	v_mul_f64 v[54:55], v[118:119], s[20:21]
	v_add_f64 v[42:43], v[48:49], v[42:43]
	v_add_f64 v[44:45], v[62:63], v[44:45]
	v_fma_f64 v[48:49], v[104:105], s[20:21], v[66:67]
	v_fma_f64 v[62:63], v[110:111], s[44:45], v[80:81]
	v_mul_f64 v[68:69], v[116:117], s[36:37]
	v_mul_f64 v[78:79], v[118:119], s[6:7]
	v_add_f64 v[40:41], v[56:57], v[40:41]
	v_add_f64 v[38:39], v[64:65], v[38:39]
	v_fma_f64 v[56:57], v[104:105], s[20:21], -v[66:67]
	v_fma_f64 v[64:65], v[110:111], s[10:11], v[80:81]
	v_add_f64 v[74:75], v[132:133], v[74:75]
	v_fma_f64 v[46:47], v[112:113], s[20:21], v[50:51]
	v_fma_f64 v[52:53], v[108:109], s[44:45], v[54:55]
	v_fma_f64 v[50:51], v[112:113], s[20:21], -v[50:51]
	v_fma_f64 v[54:55], v[108:109], s[10:11], v[54:55]
	v_add_f64 v[48:49], v[48:49], v[42:43]
	v_add_f64 v[62:63], v[62:63], v[44:45]
	v_fma_f64 v[66:67], v[112:113], s[6:7], v[68:69]
	v_fma_f64 v[80:81], v[108:109], s[4:5], v[78:79]
	v_add_f64 v[56:57], v[56:57], v[40:41]
	v_add_f64 v[64:65], v[64:65], v[38:39]
	v_fma_f64 v[68:69], v[112:113], s[6:7], -v[68:69]
	v_fma_f64 v[78:79], v[108:109], s[36:37], v[78:79]
	v_add_f64 v[38:39], v[46:47], v[76:77]
	v_add_f64 v[40:41], v[52:53], v[74:75]
	;; [unrolled: 1-line block ×8, first 2 shown]
	ds_write_b128 v134, v[1:4]
	ds_write_b128 v134, v[9:12] offset:272
	ds_write_b128 v134, v[17:20] offset:544
	;; [unrolled: 1-line block ×10, first 2 shown]
	v_mul_u32_u24_e32 v1, 0x2493, v0
	v_lshrrev_b32_e32 v2, 16, v1
	v_mul_lo_u16_e32 v1, 7, v2
	v_sub_u16_e32 v3, v0, v1
	v_mad_u64_u32 v[9:10], s[4:5], s16, v3, 0
	v_mul_lo_u32 v36, s18, v2
	ds_write_b128 v134, v[70:73] offset:2992
	ds_write_b128 v134, v[82:85] offset:3264
	;; [unrolled: 1-line block ×3, first 2 shown]
	v_mov_b32_e32 v0, v10
	v_mad_u64_u32 v[0:1], s[4:5], s17, v3, v[0:1]
	s_add_u32 s4, s22, s0
	s_addc_u32 s5, s23, s1
	v_mov_b32_e32 v10, v0
	v_mul_lo_u16_e32 v0, 0x121, v3
	s_lshl_b64 s[0:1], s[2:3], 4
	ds_write_b128 v134, v[21:24] offset:3808
	ds_write_b128 v134, v[13:16] offset:4080
	;; [unrolled: 1-line block ×3, first 2 shown]
	v_lshlrev_b32_e32 v6, 4, v0
	v_lshlrev_b32_e32 v7, 4, v2
	s_add_u32 s0, s4, s0
	v_lshlrev_b64 v[4:5], 4, v[9:10]
	v_add3_u32 v0, 0, v6, v7
	s_addc_u32 s1, s5, s1
	s_waitcnt lgkmcnt(0)
	s_barrier
	ds_read_b128 v[0:3], v0
	v_mov_b32_e32 v8, s1
	v_add_co_u32_e32 v10, vcc, s0, v4
	v_addc_co_u32_e32 v11, vcc, v8, v5, vcc
	v_lshlrev_b64 v[4:5], 4, v[36:37]
	v_add3_u32 v12, 0, v7, v6
	v_add_co_u32_e32 v8, vcc, v10, v4
	s_mul_i32 s0, s18, 17
	v_addc_co_u32_e32 v9, vcc, v11, v5, vcc
	ds_read_b128 v[4:7], v12 offset:272
	v_add_u32_e32 v36, s0, v36
	s_waitcnt lgkmcnt(1)
	global_store_dwordx4 v[8:9], v[0:3], off
	s_nop 0
	v_lshlrev_b64 v[0:1], 4, v[36:37]
	v_add_u32_e32 v36, s0, v36
	v_add_co_u32_e32 v0, vcc, v10, v0
	v_addc_co_u32_e32 v1, vcc, v11, v1, vcc
	s_waitcnt lgkmcnt(0)
	global_store_dwordx4 v[0:1], v[4:7], off
	ds_read_b128 v[0:3], v12 offset:544
	v_lshlrev_b64 v[4:5], 4, v[36:37]
	v_add_u32_e32 v36, s0, v36
	v_add_co_u32_e32 v8, vcc, v10, v4
	v_addc_co_u32_e32 v9, vcc, v11, v5, vcc
	ds_read_b128 v[4:7], v12 offset:816
	s_waitcnt lgkmcnt(1)
	global_store_dwordx4 v[8:9], v[0:3], off
	s_nop 0
	v_lshlrev_b64 v[0:1], 4, v[36:37]
	v_add_u32_e32 v36, s0, v36
	v_add_co_u32_e32 v0, vcc, v10, v0
	v_addc_co_u32_e32 v1, vcc, v11, v1, vcc
	s_waitcnt lgkmcnt(0)
	global_store_dwordx4 v[0:1], v[4:7], off
	ds_read_b128 v[0:3], v12 offset:1088
	v_lshlrev_b64 v[4:5], 4, v[36:37]
	v_add_u32_e32 v36, s0, v36
	v_add_co_u32_e32 v8, vcc, v10, v4
	v_addc_co_u32_e32 v9, vcc, v11, v5, vcc
	ds_read_b128 v[4:7], v12 offset:1360
	;; [unrolled: 15-line block ×7, first 2 shown]
	s_waitcnt lgkmcnt(1)
	global_store_dwordx4 v[8:9], v[0:3], off
	s_nop 0
	v_lshlrev_b64 v[0:1], 4, v[36:37]
	v_add_u32_e32 v36, s0, v36
	v_add_co_u32_e32 v0, vcc, v10, v0
	v_addc_co_u32_e32 v1, vcc, v11, v1, vcc
	s_waitcnt lgkmcnt(0)
	global_store_dwordx4 v[0:1], v[4:7], off
	ds_read_b128 v[0:3], v12 offset:4352
	v_lshlrev_b64 v[4:5], 4, v[36:37]
	v_add_co_u32_e32 v4, vcc, v10, v4
	v_addc_co_u32_e32 v5, vcc, v11, v5, vcc
	s_waitcnt lgkmcnt(0)
	global_store_dwordx4 v[4:5], v[0:3], off
	s_endpgm
	.section	.rodata,"a",@progbits
	.p2align	6, 0x0
	.amdhsa_kernel fft_rtc_back_len289_factors_17_17_wgs_119_tpt_17_dp_op_CI_CI_sbrc_aligned
		.amdhsa_group_segment_fixed_size 0
		.amdhsa_private_segment_fixed_size 0
		.amdhsa_kernarg_size 104
		.amdhsa_user_sgpr_count 6
		.amdhsa_user_sgpr_private_segment_buffer 1
		.amdhsa_user_sgpr_dispatch_ptr 0
		.amdhsa_user_sgpr_queue_ptr 0
		.amdhsa_user_sgpr_kernarg_segment_ptr 1
		.amdhsa_user_sgpr_dispatch_id 0
		.amdhsa_user_sgpr_flat_scratch_init 0
		.amdhsa_user_sgpr_private_segment_size 0
		.amdhsa_uses_dynamic_stack 0
		.amdhsa_system_sgpr_private_segment_wavefront_offset 0
		.amdhsa_system_sgpr_workgroup_id_x 1
		.amdhsa_system_sgpr_workgroup_id_y 0
		.amdhsa_system_sgpr_workgroup_id_z 0
		.amdhsa_system_sgpr_workgroup_info 0
		.amdhsa_system_vgpr_workitem_id 0
		.amdhsa_next_free_vgpr 161
		.amdhsa_next_free_sgpr 62
		.amdhsa_reserve_vcc 1
		.amdhsa_reserve_flat_scratch 0
		.amdhsa_float_round_mode_32 0
		.amdhsa_float_round_mode_16_64 0
		.amdhsa_float_denorm_mode_32 3
		.amdhsa_float_denorm_mode_16_64 3
		.amdhsa_dx10_clamp 1
		.amdhsa_ieee_mode 1
		.amdhsa_fp16_overflow 0
		.amdhsa_exception_fp_ieee_invalid_op 0
		.amdhsa_exception_fp_denorm_src 0
		.amdhsa_exception_fp_ieee_div_zero 0
		.amdhsa_exception_fp_ieee_overflow 0
		.amdhsa_exception_fp_ieee_underflow 0
		.amdhsa_exception_fp_ieee_inexact 0
		.amdhsa_exception_int_div_zero 0
	.end_amdhsa_kernel
	.text
.Lfunc_end0:
	.size	fft_rtc_back_len289_factors_17_17_wgs_119_tpt_17_dp_op_CI_CI_sbrc_aligned, .Lfunc_end0-fft_rtc_back_len289_factors_17_17_wgs_119_tpt_17_dp_op_CI_CI_sbrc_aligned
                                        ; -- End function
	.section	.AMDGPU.csdata,"",@progbits
; Kernel info:
; codeLenInByte = 16944
; NumSgprs: 66
; NumVgprs: 161
; ScratchSize: 0
; MemoryBound: 0
; FloatMode: 240
; IeeeMode: 1
; LDSByteSize: 0 bytes/workgroup (compile time only)
; SGPRBlocks: 8
; VGPRBlocks: 40
; NumSGPRsForWavesPerEU: 66
; NumVGPRsForWavesPerEU: 161
; Occupancy: 1
; WaveLimiterHint : 1
; COMPUTE_PGM_RSRC2:SCRATCH_EN: 0
; COMPUTE_PGM_RSRC2:USER_SGPR: 6
; COMPUTE_PGM_RSRC2:TRAP_HANDLER: 0
; COMPUTE_PGM_RSRC2:TGID_X_EN: 1
; COMPUTE_PGM_RSRC2:TGID_Y_EN: 0
; COMPUTE_PGM_RSRC2:TGID_Z_EN: 0
; COMPUTE_PGM_RSRC2:TIDIG_COMP_CNT: 0
	.type	__hip_cuid_e5ca86a6c4e1dc90,@object ; @__hip_cuid_e5ca86a6c4e1dc90
	.section	.bss,"aw",@nobits
	.globl	__hip_cuid_e5ca86a6c4e1dc90
__hip_cuid_e5ca86a6c4e1dc90:
	.byte	0                               ; 0x0
	.size	__hip_cuid_e5ca86a6c4e1dc90, 1

	.ident	"AMD clang version 19.0.0git (https://github.com/RadeonOpenCompute/llvm-project roc-6.4.0 25133 c7fe45cf4b819c5991fe208aaa96edf142730f1d)"
	.section	".note.GNU-stack","",@progbits
	.addrsig
	.addrsig_sym __hip_cuid_e5ca86a6c4e1dc90
	.amdgpu_metadata
---
amdhsa.kernels:
  - .args:
      - .actual_access:  read_only
        .address_space:  global
        .offset:         0
        .size:           8
        .value_kind:     global_buffer
      - .offset:         8
        .size:           8
        .value_kind:     by_value
      - .actual_access:  read_only
        .address_space:  global
        .offset:         16
        .size:           8
        .value_kind:     global_buffer
      - .actual_access:  read_only
        .address_space:  global
        .offset:         24
        .size:           8
        .value_kind:     global_buffer
      - .actual_access:  read_only
        .address_space:  global
        .offset:         32
        .size:           8
        .value_kind:     global_buffer
      - .offset:         40
        .size:           8
        .value_kind:     by_value
      - .actual_access:  read_only
        .address_space:  global
        .offset:         48
        .size:           8
        .value_kind:     global_buffer
      - .actual_access:  read_only
        .address_space:  global
        .offset:         56
        .size:           8
        .value_kind:     global_buffer
      - .offset:         64
        .size:           4
        .value_kind:     by_value
      - .actual_access:  read_only
        .address_space:  global
        .offset:         72
        .size:           8
        .value_kind:     global_buffer
      - .actual_access:  read_only
        .address_space:  global
        .offset:         80
        .size:           8
        .value_kind:     global_buffer
      - .actual_access:  read_only
        .address_space:  global
        .offset:         88
        .size:           8
        .value_kind:     global_buffer
      - .actual_access:  write_only
        .address_space:  global
        .offset:         96
        .size:           8
        .value_kind:     global_buffer
    .group_segment_fixed_size: 0
    .kernarg_segment_align: 8
    .kernarg_segment_size: 104
    .language:       OpenCL C
    .language_version:
      - 2
      - 0
    .max_flat_workgroup_size: 119
    .name:           fft_rtc_back_len289_factors_17_17_wgs_119_tpt_17_dp_op_CI_CI_sbrc_aligned
    .private_segment_fixed_size: 0
    .sgpr_count:     66
    .sgpr_spill_count: 0
    .symbol:         fft_rtc_back_len289_factors_17_17_wgs_119_tpt_17_dp_op_CI_CI_sbrc_aligned.kd
    .uniform_work_group_size: 1
    .uses_dynamic_stack: false
    .vgpr_count:     161
    .vgpr_spill_count: 0
    .wavefront_size: 64
amdhsa.target:   amdgcn-amd-amdhsa--gfx906
amdhsa.version:
  - 1
  - 2
...

	.end_amdgpu_metadata
